;; amdgpu-corpus repo=ROCm/rocFFT kind=compiled arch=gfx906 opt=O3
	.text
	.amdgcn_target "amdgcn-amd-amdhsa--gfx906"
	.amdhsa_code_object_version 6
	.protected	fft_rtc_fwd_len1365_factors_13_7_5_3_wgs_182_tpt_91_halfLds_half_op_CI_CI_sbrr_dirReg ; -- Begin function fft_rtc_fwd_len1365_factors_13_7_5_3_wgs_182_tpt_91_halfLds_half_op_CI_CI_sbrr_dirReg
	.globl	fft_rtc_fwd_len1365_factors_13_7_5_3_wgs_182_tpt_91_halfLds_half_op_CI_CI_sbrr_dirReg
	.p2align	8
	.type	fft_rtc_fwd_len1365_factors_13_7_5_3_wgs_182_tpt_91_halfLds_half_op_CI_CI_sbrr_dirReg,@function
fft_rtc_fwd_len1365_factors_13_7_5_3_wgs_182_tpt_91_halfLds_half_op_CI_CI_sbrr_dirReg: ; @fft_rtc_fwd_len1365_factors_13_7_5_3_wgs_182_tpt_91_halfLds_half_op_CI_CI_sbrr_dirReg
; %bb.0:
	s_load_dwordx4 s[16:19], s[4:5], 0x18
	s_load_dwordx4 s[12:15], s[4:5], 0x0
	;; [unrolled: 1-line block ×3, first 2 shown]
	v_mul_u32_u24_e32 v1, 0x2d1, v0
	v_lshrrev_b32_e32 v3, 16, v1
	s_waitcnt lgkmcnt(0)
	s_load_dwordx2 s[2:3], s[16:17], 0x0
	s_load_dwordx2 s[20:21], s[18:19], 0x0
	v_cmp_lt_u64_e64 s[0:1], s[14:15], 2
	v_mov_b32_e32 v8, 0
	v_mov_b32_e32 v1, 0
	v_lshl_add_u32 v10, s6, 1, v3
	v_mov_b32_e32 v11, v8
	s_and_b64 vcc, exec, s[0:1]
	v_mov_b32_e32 v2, 0
	s_cbranch_vccnz .LBB0_8
; %bb.1:
	s_load_dwordx2 s[0:1], s[4:5], 0x10
	s_add_u32 s6, s18, 8
	s_addc_u32 s7, s19, 0
	s_add_u32 s22, s16, 8
	v_mov_b32_e32 v1, 0
	s_addc_u32 s23, s17, 0
	v_mov_b32_e32 v2, 0
	s_waitcnt lgkmcnt(0)
	s_add_u32 s24, s0, 8
	v_mov_b32_e32 v5, v2
	s_addc_u32 s25, s1, 0
	s_mov_b64 s[26:27], 1
	v_mov_b32_e32 v4, v1
.LBB0_2:                                ; =>This Inner Loop Header: Depth=1
	s_load_dwordx2 s[28:29], s[24:25], 0x0
                                        ; implicit-def: $vgpr6_vgpr7
	s_waitcnt lgkmcnt(0)
	v_or_b32_e32 v9, s29, v11
	v_cmp_ne_u64_e32 vcc, 0, v[8:9]
	s_and_saveexec_b64 s[0:1], vcc
	s_xor_b64 s[30:31], exec, s[0:1]
	s_cbranch_execz .LBB0_4
; %bb.3:                                ;   in Loop: Header=BB0_2 Depth=1
	v_cvt_f32_u32_e32 v6, s28
	v_cvt_f32_u32_e32 v7, s29
	s_sub_u32 s0, 0, s28
	s_subb_u32 s1, 0, s29
	v_mac_f32_e32 v6, 0x4f800000, v7
	v_rcp_f32_e32 v6, v6
	v_mul_f32_e32 v6, 0x5f7ffffc, v6
	v_mul_f32_e32 v7, 0x2f800000, v6
	v_trunc_f32_e32 v7, v7
	v_mac_f32_e32 v6, 0xcf800000, v7
	v_cvt_u32_f32_e32 v7, v7
	v_cvt_u32_f32_e32 v6, v6
	v_mul_lo_u32 v9, s0, v7
	v_mul_hi_u32 v12, s0, v6
	v_mul_lo_u32 v14, s1, v6
	v_mul_lo_u32 v13, s0, v6
	v_add_u32_e32 v9, v12, v9
	v_add_u32_e32 v9, v9, v14
	v_mul_hi_u32 v12, v6, v13
	v_mul_lo_u32 v14, v6, v9
	v_mul_hi_u32 v16, v6, v9
	v_mul_hi_u32 v15, v7, v13
	v_mul_lo_u32 v13, v7, v13
	v_mul_hi_u32 v17, v7, v9
	v_add_co_u32_e32 v12, vcc, v12, v14
	v_addc_co_u32_e32 v14, vcc, 0, v16, vcc
	v_mul_lo_u32 v9, v7, v9
	v_add_co_u32_e32 v12, vcc, v12, v13
	v_addc_co_u32_e32 v12, vcc, v14, v15, vcc
	v_addc_co_u32_e32 v13, vcc, 0, v17, vcc
	v_add_co_u32_e32 v9, vcc, v12, v9
	v_addc_co_u32_e32 v12, vcc, 0, v13, vcc
	v_add_co_u32_e32 v6, vcc, v6, v9
	v_addc_co_u32_e32 v7, vcc, v7, v12, vcc
	v_mul_lo_u32 v9, s0, v7
	v_mul_hi_u32 v12, s0, v6
	v_mul_lo_u32 v13, s1, v6
	v_mul_lo_u32 v14, s0, v6
	v_add_u32_e32 v9, v12, v9
	v_add_u32_e32 v9, v9, v13
	v_mul_lo_u32 v15, v6, v9
	v_mul_hi_u32 v16, v6, v14
	v_mul_hi_u32 v17, v6, v9
	;; [unrolled: 1-line block ×3, first 2 shown]
	v_mul_lo_u32 v14, v7, v14
	v_mul_hi_u32 v12, v7, v9
	v_add_co_u32_e32 v15, vcc, v16, v15
	v_addc_co_u32_e32 v16, vcc, 0, v17, vcc
	v_mul_lo_u32 v9, v7, v9
	v_add_co_u32_e32 v14, vcc, v15, v14
	v_addc_co_u32_e32 v13, vcc, v16, v13, vcc
	v_addc_co_u32_e32 v12, vcc, 0, v12, vcc
	v_add_co_u32_e32 v9, vcc, v13, v9
	v_addc_co_u32_e32 v12, vcc, 0, v12, vcc
	v_add_co_u32_e32 v9, vcc, v6, v9
	v_addc_co_u32_e32 v12, vcc, v7, v12, vcc
	v_mad_u64_u32 v[6:7], s[0:1], v10, v12, 0
	v_mul_hi_u32 v13, v10, v9
	v_add_co_u32_e32 v14, vcc, v13, v6
	v_addc_co_u32_e32 v15, vcc, 0, v7, vcc
	v_mad_u64_u32 v[6:7], s[0:1], v11, v9, 0
	v_mad_u64_u32 v[12:13], s[0:1], v11, v12, 0
	v_add_co_u32_e32 v6, vcc, v14, v6
	v_addc_co_u32_e32 v6, vcc, v15, v7, vcc
	v_addc_co_u32_e32 v7, vcc, 0, v13, vcc
	v_add_co_u32_e32 v9, vcc, v6, v12
	v_addc_co_u32_e32 v12, vcc, 0, v7, vcc
	v_mul_lo_u32 v13, s29, v9
	v_mul_lo_u32 v14, s28, v12
	v_mad_u64_u32 v[6:7], s[0:1], s28, v9, 0
	v_add3_u32 v7, v7, v14, v13
	v_sub_u32_e32 v13, v11, v7
	v_mov_b32_e32 v14, s29
	v_sub_co_u32_e32 v6, vcc, v10, v6
	v_subb_co_u32_e64 v13, s[0:1], v13, v14, vcc
	v_subrev_co_u32_e64 v14, s[0:1], s28, v6
	v_subbrev_co_u32_e64 v13, s[0:1], 0, v13, s[0:1]
	v_cmp_le_u32_e64 s[0:1], s29, v13
	v_cndmask_b32_e64 v15, 0, -1, s[0:1]
	v_cmp_le_u32_e64 s[0:1], s28, v14
	v_cndmask_b32_e64 v14, 0, -1, s[0:1]
	v_cmp_eq_u32_e64 s[0:1], s29, v13
	v_cndmask_b32_e64 v13, v15, v14, s[0:1]
	v_add_co_u32_e64 v14, s[0:1], 2, v9
	v_addc_co_u32_e64 v15, s[0:1], 0, v12, s[0:1]
	v_add_co_u32_e64 v16, s[0:1], 1, v9
	v_addc_co_u32_e64 v17, s[0:1], 0, v12, s[0:1]
	v_subb_co_u32_e32 v7, vcc, v11, v7, vcc
	v_cmp_ne_u32_e64 s[0:1], 0, v13
	v_cmp_le_u32_e32 vcc, s29, v7
	v_cndmask_b32_e64 v13, v17, v15, s[0:1]
	v_cndmask_b32_e64 v15, 0, -1, vcc
	v_cmp_le_u32_e32 vcc, s28, v6
	v_cndmask_b32_e64 v6, 0, -1, vcc
	v_cmp_eq_u32_e32 vcc, s29, v7
	v_cndmask_b32_e32 v6, v15, v6, vcc
	v_cmp_ne_u32_e32 vcc, 0, v6
	v_cndmask_b32_e64 v6, v16, v14, s[0:1]
	v_cndmask_b32_e32 v7, v12, v13, vcc
	v_cndmask_b32_e32 v6, v9, v6, vcc
.LBB0_4:                                ;   in Loop: Header=BB0_2 Depth=1
	s_andn2_saveexec_b64 s[0:1], s[30:31]
	s_cbranch_execz .LBB0_6
; %bb.5:                                ;   in Loop: Header=BB0_2 Depth=1
	v_cvt_f32_u32_e32 v6, s28
	s_sub_i32 s30, 0, s28
	v_rcp_iflag_f32_e32 v6, v6
	v_mul_f32_e32 v6, 0x4f7ffffe, v6
	v_cvt_u32_f32_e32 v6, v6
	v_mul_lo_u32 v7, s30, v6
	v_mul_hi_u32 v7, v6, v7
	v_add_u32_e32 v6, v6, v7
	v_mul_hi_u32 v6, v10, v6
	v_mul_lo_u32 v7, v6, s28
	v_add_u32_e32 v9, 1, v6
	v_sub_u32_e32 v7, v10, v7
	v_subrev_u32_e32 v12, s28, v7
	v_cmp_le_u32_e32 vcc, s28, v7
	v_cndmask_b32_e32 v7, v7, v12, vcc
	v_cndmask_b32_e32 v6, v6, v9, vcc
	v_add_u32_e32 v9, 1, v6
	v_cmp_le_u32_e32 vcc, s28, v7
	v_cndmask_b32_e32 v6, v6, v9, vcc
	v_mov_b32_e32 v7, v8
.LBB0_6:                                ;   in Loop: Header=BB0_2 Depth=1
	s_or_b64 exec, exec, s[0:1]
	v_mul_lo_u32 v9, v7, s28
	v_mul_lo_u32 v14, v6, s29
	v_mad_u64_u32 v[12:13], s[0:1], v6, s28, 0
	s_load_dwordx2 s[0:1], s[22:23], 0x0
	s_load_dwordx2 s[28:29], s[6:7], 0x0
	v_add3_u32 v9, v13, v14, v9
	v_sub_co_u32_e32 v10, vcc, v10, v12
	v_subb_co_u32_e32 v9, vcc, v11, v9, vcc
	s_waitcnt lgkmcnt(0)
	v_mul_lo_u32 v11, s0, v9
	v_mul_lo_u32 v12, s1, v10
	v_mad_u64_u32 v[1:2], s[0:1], s0, v10, v[1:2]
	v_mul_lo_u32 v9, s28, v9
	v_mul_lo_u32 v13, s29, v10
	v_mad_u64_u32 v[4:5], s[0:1], s28, v10, v[4:5]
	s_add_u32 s26, s26, 1
	s_addc_u32 s27, s27, 0
	s_add_u32 s6, s6, 8
	v_add3_u32 v5, v13, v5, v9
	s_addc_u32 s7, s7, 0
	v_mov_b32_e32 v9, s14
	s_add_u32 s22, s22, 8
	v_mov_b32_e32 v10, s15
	s_addc_u32 s23, s23, 0
	v_cmp_ge_u64_e32 vcc, s[26:27], v[9:10]
	s_add_u32 s24, s24, 8
	v_add3_u32 v2, v12, v2, v11
	s_addc_u32 s25, s25, 0
	s_cbranch_vccnz .LBB0_9
; %bb.7:                                ;   in Loop: Header=BB0_2 Depth=1
	v_mov_b32_e32 v11, v7
	v_mov_b32_e32 v10, v6
	s_branch .LBB0_2
.LBB0_8:
	v_mov_b32_e32 v5, v2
	v_mov_b32_e32 v6, v10
	;; [unrolled: 1-line block ×4, first 2 shown]
.LBB0_9:
	s_load_dwordx2 s[0:1], s[4:5], 0x28
	s_lshl_b64 s[14:15], s[14:15], 3
	s_add_u32 s4, s18, s14
	s_addc_u32 s5, s19, s15
                                        ; implicit-def: $sgpr18
                                        ; implicit-def: $vgpr10
	s_waitcnt lgkmcnt(0)
	v_cmp_gt_u64_e32 vcc, s[0:1], v[6:7]
	v_cmp_le_u64_e64 s[0:1], s[0:1], v[6:7]
	s_and_saveexec_b64 s[6:7], s[0:1]
	s_xor_b64 s[0:1], exec, s[6:7]
; %bb.10:
	s_mov_b32 s6, 0x2d02d03
	v_mul_hi_u32 v1, v0, s6
	s_mov_b32 s18, 0
	v_mul_u32_u24_e32 v1, 0x5b, v1
	v_sub_u32_e32 v10, v0, v1
                                        ; implicit-def: $vgpr0
                                        ; implicit-def: $vgpr1_vgpr2
; %bb.11:
	s_or_saveexec_b64 s[6:7], s[0:1]
	s_load_dwordx2 s[4:5], s[4:5], 0x0
	v_mov_b32_e32 v22, s18
	v_mov_b32_e32 v9, s18
                                        ; implicit-def: $vgpr50
                                        ; implicit-def: $vgpr8
                                        ; implicit-def: $vgpr52
                                        ; implicit-def: $vgpr13
                                        ; implicit-def: $vgpr53
                                        ; implicit-def: $vgpr14
                                        ; implicit-def: $vgpr54
                                        ; implicit-def: $vgpr15
                                        ; implicit-def: $vgpr55
                                        ; implicit-def: $vgpr16
                                        ; implicit-def: $vgpr56
                                        ; implicit-def: $vgpr17
                                        ; implicit-def: $vgpr57
                                        ; implicit-def: $vgpr18
                                        ; implicit-def: $vgpr58
                                        ; implicit-def: $vgpr19
                                        ; implicit-def: $vgpr59
                                        ; implicit-def: $vgpr20
                                        ; implicit-def: $vgpr60
                                        ; implicit-def: $vgpr21
                                        ; implicit-def: $vgpr62
                                        ; implicit-def: $vgpr23
                                        ; implicit-def: $vgpr26
                                        ; implicit-def: $vgpr44
                                        ; implicit-def: $vgpr27
                                        ; implicit-def: $vgpr43
                                        ; implicit-def: $vgpr28
                                        ; implicit-def: $vgpr42
                                        ; implicit-def: $vgpr29
                                        ; implicit-def: $vgpr41
                                        ; implicit-def: $vgpr30
                                        ; implicit-def: $vgpr39
                                        ; implicit-def: $vgpr31
                                        ; implicit-def: $vgpr38
                                        ; implicit-def: $vgpr37
                                        ; implicit-def: $vgpr49
                                        ; implicit-def: $vgpr32
                                        ; implicit-def: $vgpr48
                                        ; implicit-def: $vgpr33
                                        ; implicit-def: $vgpr47
                                        ; implicit-def: $vgpr34
                                        ; implicit-def: $vgpr46
                                        ; implicit-def: $vgpr35
                                        ; implicit-def: $vgpr45
                                        ; implicit-def: $vgpr36
                                        ; implicit-def: $vgpr40
                                        ; implicit-def: $vgpr66
                                        ; implicit-def: $vgpr25
                                        ; implicit-def: $vgpr65
                                        ; implicit-def: $vgpr24
	s_xor_b64 exec, exec, s[6:7]
	s_cbranch_execz .LBB0_15
; %bb.12:
	s_add_u32 s0, s16, s14
	s_mov_b32 s14, 0x2d02d03
	v_mul_hi_u32 v8, v0, s14
	s_addc_u32 s1, s17, s15
	s_load_dwordx2 s[0:1], s[0:1], 0x0
                                        ; implicit-def: $vgpr40
                                        ; implicit-def: $vgpr45
                                        ; implicit-def: $vgpr46
                                        ; implicit-def: $vgpr47
                                        ; implicit-def: $vgpr48
                                        ; implicit-def: $vgpr49
                                        ; implicit-def: $vgpr38
                                        ; implicit-def: $vgpr39
                                        ; implicit-def: $vgpr41
                                        ; implicit-def: $vgpr42
                                        ; implicit-def: $vgpr43
                                        ; implicit-def: $vgpr44
	v_mul_u32_u24_e32 v8, 0x5b, v8
	v_sub_u32_e32 v10, v0, v8
	v_mad_u64_u32 v[8:9], s[14:15], s2, v10, 0
	s_waitcnt lgkmcnt(0)
	v_mul_lo_u32 v15, s1, v6
	v_mul_lo_u32 v16, s0, v7
	v_mad_u64_u32 v[11:12], s[0:1], s0, v6, 0
	v_mov_b32_e32 v0, v9
	v_mad_u64_u32 v[13:14], s[0:1], s3, v10, v[0:1]
	v_add3_u32 v12, v12, v16, v15
	v_lshlrev_b64 v[11:12], 2, v[11:12]
	v_mov_b32_e32 v9, v13
	v_mov_b32_e32 v0, s9
	v_add_co_u32_e64 v13, s[0:1], s8, v11
	v_add_u32_e32 v15, 0x69, v10
	v_addc_co_u32_e64 v14, s[0:1], v0, v12, s[0:1]
	v_mad_u64_u32 v[11:12], s[0:1], s2, v15, 0
	v_lshlrev_b64 v[0:1], 2, v[1:2]
	v_lshlrev_b64 v[8:9], 2, v[8:9]
	v_add_co_u32_e64 v0, s[0:1], v13, v0
	v_mov_b32_e32 v2, v12
	v_addc_co_u32_e64 v1, s[0:1], v14, v1, s[0:1]
	v_mad_u64_u32 v[12:13], s[0:1], s3, v15, v[2:3]
	v_add_u32_e32 v15, 0xd2, v10
	v_mad_u64_u32 v[13:14], s[0:1], s2, v15, 0
	v_add_co_u32_e64 v20, s[0:1], v0, v8
	v_mov_b32_e32 v2, v14
	v_addc_co_u32_e64 v21, s[0:1], v1, v9, s[0:1]
	v_lshlrev_b64 v[8:9], 2, v[11:12]
	v_mad_u64_u32 v[11:12], s[0:1], s3, v15, v[2:3]
	v_add_u32_e32 v12, 0x13b, v10
	v_mad_u64_u32 v[15:16], s[0:1], s2, v12, 0
	v_add_co_u32_e64 v22, s[0:1], v0, v8
	v_mov_b32_e32 v14, v11
	v_mov_b32_e32 v2, v16
	v_addc_co_u32_e64 v23, s[0:1], v1, v9, s[0:1]
	v_lshlrev_b64 v[8:9], 2, v[13:14]
	v_mad_u64_u32 v[11:12], s[0:1], s3, v12, v[2:3]
	v_add_u32_e32 v14, 0x1a4, v10
	v_mad_u64_u32 v[12:13], s[0:1], s2, v14, 0
	v_add_co_u32_e64 v24, s[0:1], v0, v8
	v_mov_b32_e32 v2, v13
	v_addc_co_u32_e64 v25, s[0:1], v1, v9, s[0:1]
	v_mov_b32_e32 v16, v11
	v_mad_u64_u32 v[13:14], s[0:1], s3, v14, v[2:3]
	v_add_u32_e32 v11, 0x20d, v10
	v_lshlrev_b64 v[8:9], 2, v[15:16]
	v_mad_u64_u32 v[14:15], s[0:1], s2, v11, 0
	v_add_co_u32_e64 v26, s[0:1], v0, v8
	v_mov_b32_e32 v2, v15
	v_addc_co_u32_e64 v27, s[0:1], v1, v9, s[0:1]
	v_lshlrev_b64 v[8:9], 2, v[12:13]
	v_mad_u64_u32 v[11:12], s[0:1], s3, v11, v[2:3]
	v_add_u32_e32 v16, 0x276, v10
	v_mad_u64_u32 v[12:13], s[0:1], s2, v16, 0
	v_add_co_u32_e64 v28, s[0:1], v0, v8
	v_mov_b32_e32 v15, v11
	v_mov_b32_e32 v2, v13
	v_addc_co_u32_e64 v29, s[0:1], v1, v9, s[0:1]
	v_lshlrev_b64 v[8:9], 2, v[14:15]
	v_mad_u64_u32 v[13:14], s[0:1], s3, v16, v[2:3]
	v_add_u32_e32 v11, 0x2df, v10
	v_mad_u64_u32 v[14:15], s[0:1], s2, v11, 0
	v_add_co_u32_e64 v30, s[0:1], v0, v8
	v_mov_b32_e32 v2, v15
	v_addc_co_u32_e64 v31, s[0:1], v1, v9, s[0:1]
	v_lshlrev_b64 v[8:9], 2, v[12:13]
	v_mad_u64_u32 v[11:12], s[0:1], s3, v11, v[2:3]
	v_add_co_u32_e64 v32, s[0:1], v0, v8
	v_mov_b32_e32 v15, v11
	v_addc_co_u32_e64 v33, s[0:1], v1, v9, s[0:1]
	v_lshlrev_b64 v[8:9], 2, v[14:15]
	v_add_u32_e32 v13, 0x348, v10
	v_mad_u64_u32 v[11:12], s[0:1], s2, v13, 0
	v_add_co_u32_e64 v34, s[0:1], v0, v8
	v_addc_co_u32_e64 v35, s[0:1], v1, v9, s[0:1]
	v_add_u32_e32 v9, 0x3b1, v10
	v_mad_u64_u32 v[36:37], s[0:1], s2, v9, 0
	v_mov_b32_e32 v2, v12
	v_mad_u64_u32 v[12:13], s[0:1], s3, v13, v[2:3]
	v_mov_b32_e32 v2, v37
	global_load_dword v8, v[20:21], off
	global_load_dword v13, v[22:23], off
	;; [unrolled: 1-line block ×8, first 2 shown]
	v_mad_u64_u32 v[20:21], s[0:1], s3, v9, v[2:3]
	v_add_u32_e32 v9, 0x41a, v10
	v_mad_u64_u32 v[21:22], s[0:1], s2, v9, 0
	v_lshlrev_b64 v[11:12], 2, v[11:12]
	v_mov_b32_e32 v37, v20
	v_add_co_u32_e64 v11, s[0:1], v0, v11
	v_mov_b32_e32 v2, v22
	v_addc_co_u32_e64 v12, s[0:1], v1, v12, s[0:1]
	v_mad_u64_u32 v[25:26], s[0:1], s3, v9, v[2:3]
	v_add_u32_e32 v9, 0x483, v10
	v_mad_u64_u32 v[26:27], s[0:1], s2, v9, 0
	v_lshlrev_b64 v[23:24], 2, v[36:37]
	v_mov_b32_e32 v22, v25
	v_add_co_u32_e64 v28, s[0:1], v0, v23
	v_mov_b32_e32 v2, v27
	v_addc_co_u32_e64 v29, s[0:1], v1, v24, s[0:1]
	v_lshlrev_b64 v[20:21], 2, v[21:22]
	v_mad_u64_u32 v[22:23], s[0:1], s3, v9, v[2:3]
	v_add_u32_e32 v9, 0x4ec, v10
	v_mad_u64_u32 v[23:24], s[0:1], s2, v9, 0
	v_add_co_u32_e64 v30, s[0:1], v0, v20
	v_mov_b32_e32 v2, v24
	v_addc_co_u32_e64 v31, s[0:1], v1, v21, s[0:1]
	v_mov_b32_e32 v27, v22
	v_mad_u64_u32 v[24:25], s[0:1], s3, v9, v[2:3]
	v_lshlrev_b64 v[20:21], 2, v[26:27]
	v_mov_b32_e32 v9, 0
	v_add_co_u32_e64 v26, s[0:1], v0, v20
	v_addc_co_u32_e64 v27, s[0:1], v1, v21, s[0:1]
	v_lshlrev_b64 v[20:21], 2, v[23:24]
	v_mov_b32_e32 v22, 0
	v_add_co_u32_e64 v32, s[0:1], v0, v20
	v_addc_co_u32_e64 v33, s[0:1], v1, v21, s[0:1]
	global_load_dword v20, v[11:12], off
	global_load_dword v21, v[28:29], off
	;; [unrolled: 1-line block ×5, first 2 shown]
	v_cmp_gt_u32_e64 s[0:1], 14, v10
                                        ; implicit-def: $vgpr36
                                        ; implicit-def: $vgpr35
                                        ; implicit-def: $vgpr34
                                        ; implicit-def: $vgpr33
                                        ; implicit-def: $vgpr32
                                        ; implicit-def: $vgpr37
                                        ; implicit-def: $vgpr31
                                        ; implicit-def: $vgpr30
                                        ; implicit-def: $vgpr29
                                        ; implicit-def: $vgpr28
                                        ; implicit-def: $vgpr27
                                        ; implicit-def: $vgpr26
	s_and_saveexec_b64 s[8:9], s[0:1]
	s_cbranch_execz .LBB0_14
; %bb.13:
	v_add_u32_e32 v9, 0x5b, v10
	v_mad_u64_u32 v[11:12], s[0:1], s2, v9, 0
	v_add_u32_e32 v22, 0xc4, v10
	v_mad_u64_u32 v[26:27], s[0:1], s2, v22, 0
	v_mov_b32_e32 v2, v12
	v_mad_u64_u32 v[28:29], s[0:1], s3, v9, v[2:3]
	v_mov_b32_e32 v2, v27
	v_add_u32_e32 v9, 0x12d, v10
	v_mov_b32_e32 v12, v28
	v_mad_u64_u32 v[27:28], s[0:1], s3, v22, v[2:3]
	v_mad_u64_u32 v[28:29], s[0:1], s2, v9, 0
	v_lshlrev_b64 v[11:12], 2, v[11:12]
	v_lshlrev_b64 v[26:27], 2, v[26:27]
	v_add_co_u32_e64 v11, s[0:1], v0, v11
	v_mov_b32_e32 v2, v29
	v_addc_co_u32_e64 v12, s[0:1], v1, v12, s[0:1]
	v_mad_u64_u32 v[29:30], s[0:1], s3, v9, v[2:3]
	v_add_u32_e32 v9, 0x196, v10
	v_mad_u64_u32 v[30:31], s[0:1], s2, v9, 0
	v_add_co_u32_e64 v26, s[0:1], v0, v26
	v_mov_b32_e32 v2, v31
	v_addc_co_u32_e64 v27, s[0:1], v1, v27, s[0:1]
	v_mad_u64_u32 v[31:32], s[0:1], s3, v9, v[2:3]
	v_add_u32_e32 v9, 0x1ff, v10
	v_mad_u64_u32 v[32:33], s[0:1], s2, v9, 0
	v_lshlrev_b64 v[28:29], 2, v[28:29]
	v_lshlrev_b64 v[30:31], 2, v[30:31]
	v_add_co_u32_e64 v28, s[0:1], v0, v28
	v_mov_b32_e32 v2, v33
	v_addc_co_u32_e64 v29, s[0:1], v1, v29, s[0:1]
	v_mad_u64_u32 v[33:34], s[0:1], s3, v9, v[2:3]
	v_add_u32_e32 v9, 0x268, v10
	v_mad_u64_u32 v[34:35], s[0:1], s2, v9, 0
	v_add_co_u32_e64 v30, s[0:1], v0, v30
	v_mov_b32_e32 v2, v35
	v_addc_co_u32_e64 v31, s[0:1], v1, v31, s[0:1]
	v_mad_u64_u32 v[35:36], s[0:1], s3, v9, v[2:3]
	v_add_u32_e32 v9, 0x2d1, v10
	v_mad_u64_u32 v[36:37], s[0:1], s2, v9, 0
	v_lshlrev_b64 v[32:33], 2, v[32:33]
	v_lshlrev_b64 v[34:35], 2, v[34:35]
	v_add_co_u32_e64 v32, s[0:1], v0, v32
	v_mov_b32_e32 v2, v37
	v_addc_co_u32_e64 v33, s[0:1], v1, v33, s[0:1]
	v_mad_u64_u32 v[37:38], s[0:1], s3, v9, v[2:3]
	v_add_u32_e32 v9, 0x33a, v10
	v_mad_u64_u32 v[38:39], s[0:1], s2, v9, 0
	v_add_co_u32_e64 v34, s[0:1], v0, v34
	v_lshlrev_b64 v[36:37], 2, v[36:37]
	v_mov_b32_e32 v2, v39
	v_addc_co_u32_e64 v35, s[0:1], v1, v35, s[0:1]
	v_mad_u64_u32 v[39:40], s[0:1], s3, v9, v[2:3]
	v_add_co_u32_e64 v36, s[0:1], v0, v36
	v_add_u32_e32 v9, 0x3a3, v10
	v_addc_co_u32_e64 v37, s[0:1], v1, v37, s[0:1]
	v_mad_u64_u32 v[45:46], s[0:1], s2, v9, 0
	v_lshlrev_b64 v[38:39], 2, v[38:39]
	v_add_u32_e32 v22, 0x40c, v10
	v_add_co_u32_e64 v47, s[0:1], v0, v38
	v_mov_b32_e32 v2, v46
	v_addc_co_u32_e64 v48, s[0:1], v1, v39, s[0:1]
	v_mad_u64_u32 v[49:50], s[0:1], s3, v9, v[2:3]
	v_mad_u64_u32 v[50:51], s[0:1], s2, v22, 0
	global_load_dword v9, v[11:12], off
	global_load_dword v44, v[26:27], off
	;; [unrolled: 1-line block ×8, first 2 shown]
	v_mov_b32_e32 v46, v49
	v_mov_b32_e32 v2, v51
	v_mad_u64_u32 v[26:27], s[0:1], s3, v22, v[2:3]
	v_add_u32_e32 v22, 0x475, v10
	v_mad_u64_u32 v[27:28], s[0:1], s2, v22, 0
	v_lshlrev_b64 v[11:12], 2, v[45:46]
	v_mov_b32_e32 v51, v26
	v_add_co_u32_e64 v11, s[0:1], v0, v11
	v_mov_b32_e32 v2, v28
	v_addc_co_u32_e64 v12, s[0:1], v1, v12, s[0:1]
	v_mad_u64_u32 v[31:32], s[0:1], s3, v22, v[2:3]
	v_add_u32_e32 v22, 0x4de, v10
	v_mad_u64_u32 v[32:33], s[0:1], s2, v22, 0
	v_lshlrev_b64 v[29:30], 2, v[50:51]
	v_mov_b32_e32 v28, v31
	v_add_co_u32_e64 v29, s[0:1], v0, v29
	v_mov_b32_e32 v2, v33
	v_addc_co_u32_e64 v30, s[0:1], v1, v30, s[0:1]
	v_mad_u64_u32 v[33:34], s[0:1], s3, v22, v[2:3]
	v_add_u32_e32 v22, 0x547, v10
	v_mad_u64_u32 v[34:35], s[0:1], s2, v22, 0
	v_lshlrev_b64 v[26:27], 2, v[27:28]
	v_lshlrev_b64 v[31:32], 2, v[32:33]
	v_add_co_u32_e64 v26, s[0:1], v0, v26
	v_mov_b32_e32 v2, v35
	v_addc_co_u32_e64 v27, s[0:1], v1, v27, s[0:1]
	v_mad_u64_u32 v[35:36], s[0:1], s3, v22, v[2:3]
	v_add_co_u32_e64 v31, s[0:1], v0, v31
	v_lshlrev_b64 v[33:34], 2, v[34:35]
	v_addc_co_u32_e64 v32, s[0:1], v1, v32, s[0:1]
	v_add_co_u32_e64 v0, s[0:1], v0, v33
	v_addc_co_u32_e64 v1, s[0:1], v1, v34, s[0:1]
	global_load_dword v45, v[11:12], off
	global_load_dword v46, v[29:30], off
	;; [unrolled: 1-line block ×5, first 2 shown]
	s_waitcnt vmcnt(12)
	v_lshrrev_b32_e32 v22, 16, v9
	s_waitcnt vmcnt(11)
	v_lshrrev_b32_e32 v26, 16, v44
	;; [unrolled: 2-line block ×13, first 2 shown]
.LBB0_14:
	s_or_b64 exec, exec, s[8:9]
	s_waitcnt vmcnt(12)
	v_lshrrev_b32_e32 v50, 16, v8
	s_waitcnt vmcnt(11)
	v_lshrrev_b32_e32 v52, 16, v13
	;; [unrolled: 2-line block ×13, first 2 shown]
.LBB0_15:
	s_or_b64 exec, exec, s[6:7]
	v_add_f16_e32 v0, v25, v13
	s_mov_b32 s6, 0x388b3b15
	v_sub_f16_e32 v2, v52, v66
	v_add_f16_e32 v1, v14, v23
	s_mov_b32 s2, 0xba95b770
	s_mov_b32 s7, 0xb5ac388b
	v_pk_mul_f16 v12, v0, s6 op_sel_hi:[0,1]
	v_sub_f16_e32 v11, v53, v62
	s_mov_b32 s3, 0xbb7bba95
	v_pk_fma_f16 v51, v2, s2, v12 op_sel_hi:[0,1,1] neg_lo:[1,0,0] neg_hi:[1,0,0]
	v_pk_mul_f16 v61, v1, s7 op_sel_hi:[0,1]
	v_pk_add_f16 v51, v51, v8 op_sel_hi:[1,0]
	v_pk_fma_f16 v63, v11, s3, v61 op_sel_hi:[0,1,1] neg_lo:[1,0,0] neg_hi:[1,0,0]
	v_pk_add_f16 v51, v63, v51
	v_add_f16_e32 v63, v24, v15
	s_mov_b32 s8, 0xbbc42fb7
	s_mov_b32 s16, 0xb3a8bbf1
	v_sub_f16_e32 v64, v54, v65
	v_pk_mul_f16 v71, v63, s8 op_sel_hi:[0,1]
	s_mov_b32 s9, 0xb9fdb5ac
	v_add_f16_e32 v69, v16, v21
	v_pk_fma_f16 v67, v64, s16, v71 op_sel_hi:[0,1,1] neg_lo:[1,0,0] neg_hi:[1,0,0]
	s_mov_b32 s17, 0x394ebb7b
	v_sub_f16_e32 v72, v55, v60
	v_pk_mul_f16 v73, v69, s9 op_sel_hi:[0,1]
	s_mov_b32 s14, 0x2fb7b9fd
	v_add_f16_e32 v70, v17, v20
	v_pk_add_f16 v51, v51, v67
	v_pk_fma_f16 v67, v72, s17, v73 op_sel_hi:[0,1,1] neg_lo:[1,0,0] neg_hi:[1,0,0]
	s_mov_b32 s18, 0x3bf1b94e
	v_sub_f16_e32 v74, v56, v59
	v_pk_mul_f16 v75, v70, s14 op_sel_hi:[0,1]
	s_mov_b32 s19, 0xb5ac2fb7
	v_pk_add_f16 v51, v67, v51
	v_pk_fma_f16 v67, v74, s18, v75 op_sel_hi:[0,1,1] neg_lo:[1,0,0] neg_hi:[1,0,0]
	s_mov_b32 s22, 0xbb7bbbf1
	s_mov_b32 s23, 0xb9fdbbc4
	v_pk_mul_f16 v76, v0, s19 op_sel_hi:[0,1]
	v_pk_add_f16 v51, v67, v51
	s_mov_b32 s24, 0x394eb3a8
	v_pk_fma_f16 v67, v2, s22, v76 op_sel_hi:[0,1,1] neg_lo:[1,0,0] neg_hi:[1,0,0]
	v_pk_mul_f16 v77, v1, s23 op_sel_hi:[0,1]
	s_mov_b32 s25, 0x3b15b5ac
	v_pk_add_f16 v67, v67, v8 op_sel_hi:[1,0]
	v_pk_fma_f16 v68, v11, s24, v77 op_sel_hi:[0,1,1] neg_lo:[1,0,0] neg_hi:[1,0,0]
	s_mov_b32 s26, 0x37703b7b
	v_pk_mul_f16 v78, v63, s25 op_sel_hi:[0,1]
	s_mov_b32 s27, 0x2fb73b15
	v_pk_add_f16 v67, v68, v67
	v_pk_fma_f16 v68, v64, s26, v78 op_sel_hi:[0,1,1] neg_lo:[1,0,0] neg_hi:[1,0,0]
	s_mov_b32 s28, 0xbbf13770
	v_pk_mul_f16 v79, v69, s27 op_sel_hi:[0,1]
	s_mov_b32 s29, 0xbbc4388b
	v_pk_add_f16 v67, v67, v68
	v_pk_fma_f16 v68, v72, s28, v79 op_sel_hi:[0,1,1] neg_lo:[1,0,0] neg_hi:[1,0,0]
	s_mov_b32 s30, 0x33a8ba95
	v_pk_mul_f16 v80, v70, s29 op_sel_hi:[0,1]
	s_mov_b32 s15, 0x3b15bbc4
	v_add_f16_e32 v81, v18, v19
	v_pk_add_f16 v67, v68, v67
	v_pk_fma_f16 v68, v74, s30, v80 op_sel_hi:[0,1,1] neg_lo:[1,0,0] neg_hi:[1,0,0]
	s_mov_b32 s31, 0x3770b3a8
	s_mov_b32 s33, 0x388bb9fd
	v_sub_f16_e32 v82, v57, v58
	v_pk_mul_f16 v83, v81, s15 op_sel_hi:[0,1]
	s_mov_b32 s35, 0xbbc4b9fd
	v_pk_add_f16 v68, v68, v67
	s_mov_b32 s34, 0x3a95b94e
	v_pk_fma_f16 v67, v82, s31, v83 op_sel_hi:[0,1,1] neg_lo:[1,0,0] neg_hi:[1,0,0]
	v_pk_mul_f16 v84, v81, s33 op_sel_hi:[0,1]
	s_mov_b32 s36, 0xb3a8b94e
	s_mov_b32 s37, 0x3b152fb7
	v_pk_mul_f16 v0, v0, s35 op_sel_hi:[0,1]
	v_pk_fma_f16 v85, v82, s34, v84 op_sel_hi:[0,1,1] neg_lo:[1,0,0] neg_hi:[1,0,0]
	v_pk_add_f16 v67, v67, v51
	s_mov_b32 s38, 0x37703bf1
	v_pk_fma_f16 v51, v2, s36, v0 op_sel_hi:[0,1,1] neg_lo:[1,0,0] neg_hi:[1,0,0]
	v_pk_mul_f16 v1, v1, s37 op_sel_hi:[0,1]
	s_mov_b32 s39, 0xb9fd388b
	v_pk_add_f16 v68, v85, v68
	v_pk_add_f16 v51, v51, v8 op_sel_hi:[1,0]
	v_pk_fma_f16 v85, v11, s38, v1 op_sel_hi:[0,1,1] neg_lo:[1,0,0] neg_hi:[1,0,0]
	s_mov_b32 s40, 0xb94eba95
	v_pk_mul_f16 v63, v63, s39 op_sel_hi:[0,1]
	v_pk_add_f16 v51, v85, v51
	v_pk_fma_f16 v85, v64, s40, v63 op_sel_hi:[0,1,1] neg_lo:[1,0,0] neg_hi:[1,0,0]
	s_mov_b32 s41, 0x388bbbc4
	v_pk_add_f16 v51, v51, v85
	s_mov_b32 s42, 0x3a9533a8
	v_pk_mul_f16 v85, v69, s41 op_sel_hi:[0,1]
	s_mov_b32 s43, 0xb5ac3b15
	v_pk_fma_f16 v69, v72, s42, v85 op_sel_hi:[0,1,1] neg_lo:[1,0,0] neg_hi:[1,0,0]
	s_mov_b32 s44, 0xbb7b3770
	v_pk_mul_f16 v70, v70, s43 op_sel_hi:[0,1]
	s_mov_b32 s45, 0x2fb7b5ac
	v_pk_fma_f16 v0, v2, s36, v0 op_sel_hi:[0,1,1]
	v_pk_add_f16 v51, v69, v51
	v_pk_fma_f16 v69, v74, s44, v70 op_sel_hi:[0,1,1] neg_lo:[1,0,0] neg_hi:[1,0,0]
	s_mov_b32 s46, 0x3bf1bb7b
	v_pk_mul_f16 v81, v81, s45 op_sel_hi:[0,1]
	v_pk_add_f16 v0, v0, v8 op_sel_hi:[1,0]
	v_pk_fma_f16 v1, v11, s38, v1 op_sel_hi:[0,1,1]
	v_pk_add_f16 v51, v69, v51
	v_pk_fma_f16 v69, v82, s46, v81 op_sel_hi:[0,1,1] neg_lo:[1,0,0] neg_hi:[1,0,0]
	v_pk_add_f16 v0, v1, v0
	v_pk_fma_f16 v1, v64, s40, v63 op_sel_hi:[0,1,1]
	v_pk_add_f16 v69, v69, v51
	v_pk_add_f16 v0, v0, v1
	v_pk_fma_f16 v1, v72, s42, v85 op_sel_hi:[0,1,1]
	v_pk_fma_f16 v51, v2, s22, v76 op_sel_hi:[0,1,1]
	;; [unrolled: 1-line block ×3, first 2 shown]
	v_pk_add_f16 v0, v1, v0
	v_pk_fma_f16 v1, v74, s44, v70 op_sel_hi:[0,1,1]
	v_pk_add_f16 v51, v51, v8 op_sel_hi:[1,0]
	v_pk_fma_f16 v63, v11, s24, v77 op_sel_hi:[0,1,1]
	v_pk_fma_f16 v11, v11, s3, v61 op_sel_hi:[0,1,1]
	v_pk_add_f16 v2, v2, v8 op_sel_hi:[1,0]
	v_pk_add_f16 v0, v1, v0
	v_pk_fma_f16 v1, v82, s46, v81 op_sel_hi:[0,1,1]
	v_pk_add_f16 v51, v63, v51
	v_pk_fma_f16 v63, v64, s26, v78 op_sel_hi:[0,1,1]
	;; [unrolled: 2-line block ×3, first 2 shown]
	v_pk_add_f16 v0, v1, v0
	v_pk_add_f16 v51, v51, v63
	v_pk_fma_f16 v63, v72, s28, v79 op_sel_hi:[0,1,1]
	v_pk_add_f16 v2, v2, v11
	v_pk_fma_f16 v11, v72, s17, v73 op_sel_hi:[0,1,1]
	v_alignbit_b32 v70, v0, v0, 16
	v_and_b32_e32 v0, 1, v3
	v_pk_add_f16 v51, v63, v51
	v_pk_fma_f16 v63, v74, s30, v80 op_sel_hi:[0,1,1]
	v_pk_add_f16 v2, v11, v2
	v_pk_fma_f16 v11, v74, s18, v75 op_sel_hi:[0,1,1]
	v_mov_b32_e32 v1, 0x555
	v_cmp_eq_u32_e64 s[0:1], 1, v0
	v_pk_add_f16 v51, v63, v51
	v_pk_fma_f16 v63, v82, s34, v84 op_sel_hi:[0,1,1]
	v_pk_add_f16 v2, v11, v2
	v_pk_fma_f16 v11, v82, s31, v83 op_sel_hi:[0,1,1]
	v_cndmask_b32_e64 v1, 0, v1, s[0:1]
	v_mad_u32_u24 v0, v10, 26, 0
	v_pk_add_f16 v51, v63, v51
	v_sub_f16_e32 v72, v26, v37
	v_pk_add_f16 v2, v11, v2
	v_lshl_add_u32 v3, v1, 1, v0
	v_add_f16_e32 v71, v44, v49
	v_alignbit_b32 v11, v51, v51, 16
	v_alignbit_b32 v12, v2, v2, 16
	v_pk_mul_f16 v2, v72, s2 op_sel_hi:[0,1]
	v_sub_f16_e32 v73, v27, v32
	ds_write_b64 v3, v[11:12] offset:18
	v_pk_fma_f16 v11, v71, s6, v2 op_sel_hi:[0,1,1] neg_lo:[0,0,1] neg_hi:[0,0,1]
	ds_write_b128 v3, v[67:70] offset:2
	v_add_f16_e32 v70, v43, v48
	v_pk_add_f16 v12, v9, v11 op_sel_hi:[0,1]
	v_pk_mul_f16 v11, v73, s3 op_sel_hi:[0,1]
	v_pk_fma_f16 v51, v70, s7, v11 op_sel_hi:[0,1,1] neg_lo:[0,0,1] neg_hi:[0,0,1]
	v_sub_f16_e32 v75, v28, v33
	v_pk_add_f16 v51, v12, v51
	v_add_f16_e32 v74, v42, v47
	v_pk_mul_f16 v12, v75, s16 op_sel_hi:[0,1]
	v_sub_f16_e32 v77, v29, v34
	v_pk_fma_f16 v61, v74, s8, v12 op_sel_hi:[0,1,1] neg_lo:[0,0,1] neg_hi:[0,0,1]
	v_add_f16_e32 v76, v41, v46
	v_pk_mul_f16 v67, v77, s17 op_sel_hi:[0,1]
	v_sub_f16_e32 v79, v30, v35
	v_pk_add_f16 v51, v51, v61
	v_pk_fma_f16 v61, v76, s9, v67 op_sel_hi:[0,1,1] neg_lo:[0,0,1] neg_hi:[0,0,1]
	v_add_f16_e32 v78, v39, v45
	v_pk_mul_f16 v68, v79, s18 op_sel_hi:[0,1]
	v_sub_f16_e32 v81, v31, v36
	v_pk_add_f16 v51, v51, v61
	v_pk_fma_f16 v61, v78, s14, v68 op_sel_hi:[0,1,1] neg_lo:[0,0,1] neg_hi:[0,0,1]
	v_add_f16_e32 v80, v38, v40
	v_pk_mul_f16 v69, v81, s31 op_sel_hi:[0,1]
	v_pk_add_f16 v51, v51, v61
	v_pk_fma_f16 v61, v80, s15, v69 op_sel_hi:[0,1,1] neg_lo:[0,0,1] neg_hi:[0,0,1]
	v_pk_add_f16 v51, v51, v61
	v_pk_mul_f16 v61, v72, s22 op_sel_hi:[0,1]
	v_pk_fma_f16 v61, v71, s19, v61 op_sel_hi:[0,1,1] neg_lo:[0,0,1] neg_hi:[0,0,1]
	v_pk_mul_f16 v63, v73, s24 op_sel_hi:[0,1]
	v_pk_add_f16 v61, v9, v61 op_sel_hi:[0,1]
	v_pk_fma_f16 v63, v70, s23, v63 op_sel_hi:[0,1,1] neg_lo:[0,0,1] neg_hi:[0,0,1]
	v_pk_add_f16 v61, v61, v63
	v_pk_mul_f16 v63, v75, s26 op_sel_hi:[0,1]
	v_pk_fma_f16 v63, v74, s25, v63 op_sel_hi:[0,1,1] neg_lo:[0,0,1] neg_hi:[0,0,1]
	v_pk_add_f16 v61, v61, v63
	v_pk_mul_f16 v63, v77, s28 op_sel_hi:[0,1]
	;; [unrolled: 3-line block ×5, first 2 shown]
	v_pk_mul_f16 v64, v72, s36 op_sel_hi:[0,1]
	v_add_f16_sdwa v63, v64, v63 dst_sel:DWORD dst_unused:UNUSED_PAD src0_sel:WORD_1 src1_sel:WORD_1
	v_pk_fma_f16 v64, v71, s35, v64 op_sel_hi:[0,1,1] neg_lo:[0,0,1] neg_hi:[0,0,1]
	v_pk_mul_f16 v82, v73, s38 op_sel_hi:[0,1]
	v_pk_add_f16 v64, v9, v64 op_sel_hi:[0,1]
	v_pk_fma_f16 v83, v70, s37, v82 op_sel_hi:[0,1,1] neg_lo:[0,0,1] neg_hi:[0,0,1]
	v_pk_add_f16 v64, v64, v83
	v_pk_mul_f16 v83, v70, s37 op_sel_hi:[0,1]
	v_add_f16_sdwa v82, v82, v83 dst_sel:DWORD dst_unused:UNUSED_PAD src0_sel:WORD_1 src1_sel:WORD_1
	v_add_f16_e32 v63, v9, v63
	v_add_f16_e32 v63, v63, v82
	v_pk_mul_f16 v82, v75, s40 op_sel_hi:[0,1]
	v_pk_fma_f16 v83, v74, s39, v82 op_sel_hi:[0,1,1] neg_lo:[0,0,1] neg_hi:[0,0,1]
	v_pk_add_f16 v64, v64, v83
	v_pk_mul_f16 v83, v74, s39 op_sel_hi:[0,1]
	v_add_f16_sdwa v82, v82, v83 dst_sel:DWORD dst_unused:UNUSED_PAD src0_sel:WORD_1 src1_sel:WORD_1
	v_add_f16_e32 v63, v63, v82
	v_pk_mul_f16 v82, v77, s42 op_sel_hi:[0,1]
	v_pk_fma_f16 v83, v76, s41, v82 op_sel_hi:[0,1,1] neg_lo:[0,0,1] neg_hi:[0,0,1]
	v_add_f16_e32 v8, v8, v13
	v_pk_add_f16 v64, v64, v83
	v_pk_mul_f16 v83, v76, s41 op_sel_hi:[0,1]
	v_add_f16_e32 v8, v8, v14
	v_add_f16_sdwa v82, v82, v83 dst_sel:DWORD dst_unused:UNUSED_PAD src0_sel:WORD_1 src1_sel:WORD_1
	v_add_f16_e32 v8, v8, v15
	v_add_f16_e32 v63, v63, v82
	v_pk_mul_f16 v82, v79, s44 op_sel_hi:[0,1]
	v_add_f16_e32 v8, v8, v16
	v_pk_fma_f16 v83, v78, s43, v82 op_sel_hi:[0,1,1] neg_lo:[0,0,1] neg_hi:[0,0,1]
	v_add_f16_e32 v8, v8, v17
	v_pk_add_f16 v64, v64, v83
	v_pk_mul_f16 v83, v78, s43 op_sel_hi:[0,1]
	v_add_f16_e32 v8, v8, v18
	v_add_f16_sdwa v82, v82, v83 dst_sel:DWORD dst_unused:UNUSED_PAD src0_sel:WORD_1 src1_sel:WORD_1
	v_add_f16_e32 v8, v8, v19
	v_add_f16_e32 v63, v63, v82
	v_pk_mul_f16 v82, v81, s46 op_sel_hi:[0,1]
	v_add_f16_e32 v8, v8, v20
	v_pk_fma_f16 v83, v80, s45, v82 op_sel_hi:[0,1,1] neg_lo:[0,0,1] neg_hi:[0,0,1]
	v_add_f16_e32 v8, v8, v21
	v_pk_add_f16 v64, v64, v83
	v_pk_mul_f16 v83, v80, s45 op_sel_hi:[0,1]
	v_add_f16_e32 v8, v8, v24
	v_add_f16_sdwa v82, v82, v83 dst_sel:DWORD dst_unused:UNUSED_PAD src0_sel:WORD_1 src1_sel:WORD_1
	v_add_f16_e32 v8, v8, v23
	v_add_f16_e32 v63, v63, v82
	;; [unrolled: 1-line block ×3, first 2 shown]
	v_cmp_gt_u32_e64 s[2:3], 14, v10
	ds_write_b16 v3, v8
	s_and_saveexec_b64 s[0:1], s[2:3]
	s_cbranch_execz .LBB0_17
; %bb.16:
	v_add_f16_e32 v88, v9, v44
	v_add_f16_e32 v88, v88, v43
	;; [unrolled: 1-line block ×5, first 2 shown]
	v_pk_mul_f16 v8, v71, s6 op_sel_hi:[0,1]
	v_add_f16_e32 v88, v88, v38
	v_pack_b32_f16 v83, v70, v70
	v_pk_mul_f16 v70, v70, s7 op_sel_hi:[0,1]
	v_add_f16_e32 v88, v88, v40
	v_add_f16_e32 v2, v2, v8
	v_pack_b32_f16 v84, v74, v74
	v_pk_mul_f16 v74, v74, s8 op_sel_hi:[0,1]
	v_add_f16_e32 v88, v45, v88
	v_add_f16_e32 v2, v9, v2
	v_add_f16_e32 v8, v11, v70
	v_pack_b32_f16 v85, v76, v76
	v_pk_mul_f16 v76, v76, s9 op_sel_hi:[0,1]
	v_add_f16_e32 v88, v46, v88
	;; [unrolled: 5-line block ×4, first 2 shown]
	v_add_f16_e32 v2, v2, v8
	v_add_f16_e32 v8, v68, v78
	v_pack_b32_f16 v82, v71, v71
	s_mov_b32 s6, 0x5040100
	v_add_f16_e32 v88, v49, v88
	v_add_f16_e32 v2, v2, v8
	v_add_f16_e32 v8, v69, v80
	s_mov_b32 s7, 0xb5acb9fd
	v_pack_b32_f16 v71, v72, v72
	v_perm_b32 v72, v9, v9, s6
	v_add_f16_e32 v2, v2, v8
	v_perm_b32 v67, v51, v88, s6
	s_mov_b32 s6, 0xbb7bb94e
	v_pk_mul_f16 v8, v82, s7
	s_mov_b32 s7, 0xb9fd2fb7
	v_pack_b32_f16 v73, v73, v73
	v_pk_fma_f16 v8, v71, s6, v8
	s_mov_b32 s6, 0x394e3bf1
	v_pk_mul_f16 v9, v83, s7
	v_pk_add_f16 v8, v72, v8
	v_pk_fma_f16 v9, v73, s6, v9
	s_mov_b32 s7, 0x3b15388b
	v_pack_b32_f16 v75, v75, v75
	v_pk_add_f16 v8, v8, v9
	s_mov_b32 s6, 0x3770ba95
	v_pk_mul_f16 v9, v84, s7
	v_pk_fma_f16 v9, v75, s6, v9
	s_mov_b32 s7, 0x2fb7bbc4
	v_pack_b32_f16 v77, v77, v77
	v_pk_add_f16 v8, v8, v9
	s_mov_b32 s6, 0xbbf133a8
	v_pk_mul_f16 v9, v85, s7
	;; [unrolled: 6-line block ×4, first 2 shown]
	v_pk_fma_f16 v9, v81, s6, v9
	s_mov_b32 s7, 0x388b2fb7
	v_pk_add_f16 v8, v8, v9
	s_mov_b32 s6, 0xba95bbf1
	v_pk_mul_f16 v9, v82, s7
	s_mov_b32 s7, 0xb5acbbc4
	v_pk_fma_f16 v9, v71, s6, v9
	s_mov_b32 s6, 0xbb7bb3a8
	v_pk_mul_f16 v11, v83, s7
	v_pk_add_f16 v9, v72, v9
	v_pk_fma_f16 v11, v73, s6, v11
	s_mov_b32 s7, 0xbbc4b5ac
	v_pk_add_f16 v9, v9, v11
	s_mov_b32 s6, 0xb3a83b7b
	v_pk_mul_f16 v11, v84, s7
	v_pk_fma_f16 v11, v75, s6, v11
	s_mov_b32 s7, 0xb9fd3b15
	v_pk_add_f16 v9, v9, v11
	s_mov_b32 s6, 0x394e3770
	v_pk_mul_f16 v11, v85, s7
	;; [unrolled: 5-line block ×4, first 2 shown]
	v_pk_fma_f16 v11, v81, s6, v11
	v_alignbit_b32 v70, v63, v64, 16
	v_alignbit_b32 v69, v64, v61, 16
	;; [unrolled: 1-line block ×3, first 2 shown]
	v_pk_add_f16 v9, v9, v11
	ds_write_b128 v3, v[67:70] offset:2366
	ds_write_b64 v3, v[8:9] offset:2382
	ds_write_b16 v3, v2 offset:2390
.LBB0_17:
	s_or_b64 exec, exec, s[0:1]
	v_lshlrev_b32_e32 v9, 1, v1
	v_lshlrev_b32_e32 v8, 1, v10
	v_mul_i32_i24_e32 v1, 0xffffffe8, v10
	v_add3_u32 v11, 0, v9, v8
	v_add3_u32 v12, v0, v1, v9
	s_waitcnt lgkmcnt(0)
	s_barrier
	ds_read_u16 v68, v11
	ds_read_u16 v71, v12 offset:1560
	ds_read_u16 v69, v12 offset:1352
	ds_read_u16 v76, v12 offset:1170
	ds_read_u16 v72, v12 offset:962
	ds_read_u16 v78, v12 offset:780
	ds_read_u16 v74, v12 offset:572
	ds_read_u16 v80, v12 offset:390
	ds_read_u16 v67, v12 offset:182
	ds_read_u16 v70, v12 offset:2522
	ds_read_u16 v77, v12 offset:2340
	ds_read_u16 v73, v12 offset:2132
	ds_read_u16 v79, v12 offset:1950
	ds_read_u16 v75, v12 offset:1742
	v_cmp_gt_u32_e64 s[0:1], 13, v10
	s_and_saveexec_b64 s[6:7], s[0:1]
	s_cbranch_execz .LBB0_19
; %bb.18:
	ds_read_u16 v0, v12 offset:364
	ds_read_u16 v1, v12 offset:754
	;; [unrolled: 1-line block ×7, first 2 shown]
	s_mov_b32 s8, 0x5040100
	s_waitcnt lgkmcnt(5)
	v_perm_b32 v51, v1, v0, s8
	s_waitcnt lgkmcnt(3)
	v_perm_b32 v61, v61, v2, s8
	;; [unrolled: 2-line block ×3, first 2 shown]
.LBB0_19:
	s_or_b64 exec, exec, s[6:7]
	v_add_f16_e32 v0, v50, v52
	v_add_f16_e32 v0, v0, v53
	;; [unrolled: 1-line block ×11, first 2 shown]
	v_sub_f16_e32 v1, v13, v25
	s_mov_b32 s6, 0xba95b770
	v_add_f16_e32 v81, v66, v0
	v_add_f16_e32 v0, v66, v52
	v_sub_f16_e32 v13, v14, v23
	v_sub_f16_e32 v18, v18, v19
	s_mov_b32 s8, 0x388b3b15
	v_pk_mul_f16 v19, v1, s6 op_sel_hi:[0,1]
	s_mov_b32 s7, 0xbb7bba95
	v_add_f16_e32 v2, v53, v62
	v_sub_f16_e32 v15, v15, v24
	v_pk_fma_f16 v24, v0, s8, v19 op_sel_hi:[0,1,1]
	s_mov_b32 s9, 0xb5ac388b
	v_pk_mul_f16 v25, v13, s7 op_sel_hi:[0,1]
	s_mov_b32 s26, 0xb3a8bbf1
	v_add_f16_e32 v14, v65, v54
	v_sub_f16_e32 v16, v16, v21
	v_pk_add_f16 v24, v24, v50 op_sel_hi:[1,0]
	v_pk_fma_f16 v52, v2, s9, v25 op_sel_hi:[0,1,1]
	s_mov_b32 s14, 0xbbc42fb7
	v_pk_mul_f16 v53, v15, s26 op_sel_hi:[0,1]
	s_mov_b32 s27, 0x394ebb7b
	v_add_f16_e32 v23, v55, v60
	v_sub_f16_e32 v17, v17, v20
	v_pk_add_f16 v24, v52, v24
	v_pk_fma_f16 v52, v14, s14, v53 op_sel_hi:[0,1,1]
	s_mov_b32 s15, 0xb9fdb5ac
	v_pk_mul_f16 v54, v16, s27 op_sel_hi:[0,1]
	s_mov_b32 s28, 0x3bf1b94e
	v_add_f16_e32 v21, v56, v59
	v_pk_add_f16 v24, v24, v52
	v_pk_fma_f16 v52, v23, s15, v54 op_sel_hi:[0,1,1]
	s_mov_b32 s16, 0x2fb7b9fd
	v_pk_mul_f16 v55, v17, s28 op_sel_hi:[0,1]
	s_mov_b32 s29, 0x3770b3a8
	v_add_f16_e32 v20, v57, v58
	v_pk_add_f16 v24, v52, v24
	v_pk_fma_f16 v52, v21, s16, v55 op_sel_hi:[0,1,1]
	s_mov_b32 s17, 0x3b15bbc4
	v_pk_mul_f16 v56, v18, s29 op_sel_hi:[0,1]
	v_pk_add_f16 v24, v52, v24
	v_pk_fma_f16 v52, v20, s17, v56 op_sel_hi:[0,1,1]
	v_pk_fma_f16 v19, v0, s8, v19 op_sel_hi:[0,1,1] neg_lo:[0,0,1] neg_hi:[0,0,1]
	v_pk_add_f16 v52, v52, v24
	v_pk_add_f16 v19, v19, v50 op_sel_hi:[1,0]
	v_pk_fma_f16 v24, v2, s9, v25 op_sel_hi:[0,1,1] neg_lo:[0,0,1] neg_hi:[0,0,1]
	v_pk_add_f16 v19, v24, v19
	v_pk_fma_f16 v24, v14, s14, v53 op_sel_hi:[0,1,1] neg_lo:[0,0,1] neg_hi:[0,0,1]
	v_pk_add_f16 v19, v19, v24
	;; [unrolled: 2-line block ×4, first 2 shown]
	v_pk_fma_f16 v24, v20, s17, v56 op_sel_hi:[0,1,1] neg_lo:[0,0,1] neg_hi:[0,0,1]
	s_mov_b32 s30, 0xbb7bbbf1
	v_pk_add_f16 v56, v24, v19
	s_mov_b32 s18, 0xb5ac2fb7
	v_pk_mul_f16 v19, v1, s30 op_sel_hi:[0,1]
	s_mov_b32 s31, 0x394eb3a8
	v_pk_fma_f16 v24, v0, s18, v19 op_sel_hi:[0,1,1]
	s_mov_b32 s19, 0xb9fdbbc4
	v_pk_mul_f16 v25, v13, s31 op_sel_hi:[0,1]
	s_mov_b32 s33, 0x37703b7b
	v_pk_add_f16 v24, v24, v50 op_sel_hi:[1,0]
	v_pk_fma_f16 v53, v2, s19, v25 op_sel_hi:[0,1,1]
	s_mov_b32 s22, 0x3b15b5ac
	v_pk_mul_f16 v54, v15, s33 op_sel_hi:[0,1]
	s_mov_b32 s34, 0xbbf13770
	v_pk_add_f16 v24, v53, v24
	v_pk_fma_f16 v53, v14, s22, v54 op_sel_hi:[0,1,1]
	s_mov_b32 s23, 0x2fb73b15
	v_pk_mul_f16 v55, v16, s34 op_sel_hi:[0,1]
	s_mov_b32 s35, 0x33a8ba95
	v_pk_add_f16 v24, v24, v53
	;; [unrolled: 5-line block ×3, first 2 shown]
	v_pk_fma_f16 v53, v21, s24, v57 op_sel_hi:[0,1,1]
	s_mov_b32 s25, 0x388bb9fd
	v_pk_mul_f16 v58, v18, s36 op_sel_hi:[0,1]
	v_pk_add_f16 v24, v53, v24
	v_pk_fma_f16 v53, v20, s25, v58 op_sel_hi:[0,1,1]
	v_pk_fma_f16 v19, v0, s18, v19 op_sel_hi:[0,1,1] neg_lo:[0,0,1] neg_hi:[0,0,1]
	v_pk_add_f16 v53, v53, v24
	v_pk_add_f16 v19, v19, v50 op_sel_hi:[1,0]
	v_pk_fma_f16 v24, v2, s19, v25 op_sel_hi:[0,1,1] neg_lo:[0,0,1] neg_hi:[0,0,1]
	v_pk_add_f16 v19, v24, v19
	v_pk_fma_f16 v24, v14, s22, v54 op_sel_hi:[0,1,1] neg_lo:[0,0,1] neg_hi:[0,0,1]
	v_pk_add_f16 v19, v19, v24
	v_pk_fma_f16 v24, v23, s23, v55 op_sel_hi:[0,1,1] neg_lo:[0,0,1] neg_hi:[0,0,1]
	v_pk_add_f16 v19, v24, v19
	v_pk_fma_f16 v24, v21, s24, v57 op_sel_hi:[0,1,1] neg_lo:[0,0,1] neg_hi:[0,0,1]
	s_mov_b32 s38, 0xb3a8b94e
	v_pk_add_f16 v19, v24, v19
	v_pk_fma_f16 v24, v20, s25, v58 op_sel_hi:[0,1,1] neg_lo:[0,0,1] neg_hi:[0,0,1]
	s_mov_b32 s37, 0xbbc4b9fd
	v_pk_mul_f16 v1, v1, s38 op_sel_hi:[0,1]
	s_mov_b32 s40, 0x37703bf1
	v_pk_add_f16 v57, v24, v19
	v_pk_fma_f16 v19, v0, s37, v1 op_sel_hi:[0,1,1]
	s_mov_b32 s39, 0x3b152fb7
	v_pk_mul_f16 v13, v13, s40 op_sel_hi:[0,1]
	s_mov_b32 s42, 0xb94eba95
	v_pk_fma_f16 v0, v0, s37, v1 op_sel_hi:[0,1,1] neg_lo:[0,0,1] neg_hi:[0,0,1]
	v_pk_add_f16 v19, v19, v50 op_sel_hi:[1,0]
	v_pk_fma_f16 v24, v2, s39, v13 op_sel_hi:[0,1,1]
	s_mov_b32 s41, 0xb9fd388b
	v_pk_mul_f16 v15, v15, s42 op_sel_hi:[0,1]
	s_mov_b32 s44, 0x3a9533a8
	v_pk_add_f16 v0, v0, v50 op_sel_hi:[1,0]
	v_pk_fma_f16 v1, v2, s39, v13 op_sel_hi:[0,1,1] neg_lo:[0,0,1] neg_hi:[0,0,1]
	v_pk_add_f16 v19, v24, v19
	v_pk_fma_f16 v24, v14, s41, v15 op_sel_hi:[0,1,1]
	s_mov_b32 s43, 0x388bbbc4
	v_pk_mul_f16 v16, v16, s44 op_sel_hi:[0,1]
	s_mov_b32 s46, 0xbb7b3770
	v_pk_add_f16 v0, v1, v0
	v_pk_fma_f16 v1, v14, s41, v15 op_sel_hi:[0,1,1] neg_lo:[0,0,1] neg_hi:[0,0,1]
	v_pk_add_f16 v19, v19, v24
	v_pk_fma_f16 v24, v23, s43, v16 op_sel_hi:[0,1,1]
	s_mov_b32 s45, 0xb5ac3b15
	v_pk_mul_f16 v17, v17, s46 op_sel_hi:[0,1]
	s_mov_b32 s48, 0x3bf1bb7b
	v_pk_add_f16 v0, v0, v1
	v_pk_fma_f16 v1, v23, s43, v16 op_sel_hi:[0,1,1] neg_lo:[0,0,1] neg_hi:[0,0,1]
	v_pk_add_f16 v19, v24, v19
	v_pk_fma_f16 v24, v21, s45, v17 op_sel_hi:[0,1,1]
	s_mov_b32 s47, 0x2fb7b5ac
	v_pk_mul_f16 v18, v18, s48 op_sel_hi:[0,1]
	v_pk_add_f16 v0, v1, v0
	v_pk_fma_f16 v1, v21, s45, v17 op_sel_hi:[0,1,1] neg_lo:[0,0,1] neg_hi:[0,0,1]
	v_sub_f16_e32 v2, v44, v49
	v_pk_add_f16 v19, v24, v19
	v_pk_fma_f16 v24, v20, s47, v18 op_sel_hi:[0,1,1]
	v_pk_add_f16 v0, v1, v0
	v_pk_fma_f16 v1, v20, s47, v18 op_sel_hi:[0,1,1] neg_lo:[0,0,1] neg_hi:[0,0,1]
	v_add_f16_e32 v21, v26, v37
	v_sub_f16_e32 v13, v43, v48
	v_pk_mul_f16 v14, v2, s6 op_sel_hi:[0,1]
	v_pk_add_f16 v54, v24, v19
	v_pk_add_f16 v50, v1, v0
	v_add_f16_e32 v24, v27, v32
	v_sub_f16_e32 v47, v42, v47
	v_pk_fma_f16 v0, v21, s8, v14 op_sel_hi:[0,1,1]
	v_pk_mul_f16 v15, v13, s7 op_sel_hi:[0,1]
	v_add_f16_e32 v43, v28, v33
	v_sub_f16_e32 v46, v41, v46
	v_pk_add_f16 v0, v22, v0 op_sel_hi:[0,1]
	v_pk_fma_f16 v1, v24, s9, v15 op_sel_hi:[0,1,1]
	v_pk_mul_f16 v16, v47, s26 op_sel_hi:[0,1]
	v_add_f16_e32 v42, v29, v34
	v_sub_f16_e32 v48, v39, v45
	v_pk_add_f16 v0, v0, v1
	v_pk_fma_f16 v1, v43, s14, v16 op_sel_hi:[0,1,1]
	v_pk_mul_f16 v17, v46, s27 op_sel_hi:[0,1]
	v_add_f16_e32 v41, v30, v35
	v_sub_f16_e32 v38, v38, v40
	v_pk_add_f16 v0, v0, v1
	v_pk_fma_f16 v1, v42, s15, v17 op_sel_hi:[0,1,1]
	v_pk_mul_f16 v18, v48, s28 op_sel_hi:[0,1]
	v_add_f16_e32 v45, v31, v36
	v_pk_add_f16 v0, v0, v1
	v_pk_fma_f16 v1, v41, s16, v18 op_sel_hi:[0,1,1]
	v_pk_mul_f16 v19, v38, s29 op_sel_hi:[0,1]
	v_pk_add_f16 v0, v0, v1
	v_pk_fma_f16 v1, v45, s17, v19 op_sel_hi:[0,1,1]
	v_pk_mul_f16 v20, v2, s30 op_sel_hi:[0,1]
	;; [unrolled: 3-line block ×3, first 2 shown]
	v_pk_add_f16 v1, v22, v1 op_sel_hi:[0,1]
	v_pk_fma_f16 v25, v24, s19, v23 op_sel_hi:[0,1,1]
	v_pk_add_f16 v1, v1, v25
	v_pk_mul_f16 v25, v47, s33 op_sel_hi:[0,1]
	v_pk_fma_f16 v39, v43, s22, v25 op_sel_hi:[0,1,1]
	v_pk_add_f16 v1, v1, v39
	v_pk_mul_f16 v39, v46, s34 op_sel_hi:[0,1]
	;; [unrolled: 3-line block ×5, first 2 shown]
	v_pk_fma_f16 v2, v21, s37, v49 op_sel_hi:[0,1,1]
	v_pk_mul_f16 v13, v13, s40 op_sel_hi:[0,1]
	v_pk_fma_f16 v49, v21, s37, v49 op_sel_hi:[0,1,1] neg_lo:[0,0,1] neg_hi:[0,0,1]
	v_pk_add_f16 v2, v22, v2 op_sel_hi:[0,1]
	v_pk_fma_f16 v55, v24, s39, v13 op_sel_hi:[0,1,1]
	v_pk_mul_f16 v47, v47, s42 op_sel_hi:[0,1]
	v_pk_add_f16 v49, v22, v49 op_sel_hi:[0,1]
	v_pk_fma_f16 v13, v24, s39, v13 op_sel_hi:[0,1,1] neg_lo:[0,0,1] neg_hi:[0,0,1]
	v_pk_add_f16 v2, v2, v55
	v_pk_fma_f16 v55, v43, s41, v47 op_sel_hi:[0,1,1]
	v_pk_mul_f16 v46, v46, s44 op_sel_hi:[0,1]
	v_pk_add_f16 v13, v49, v13
	v_pk_fma_f16 v47, v43, s41, v47 op_sel_hi:[0,1,1] neg_lo:[0,0,1] neg_hi:[0,0,1]
	v_pk_add_f16 v2, v2, v55
	v_pk_fma_f16 v55, v42, s43, v46 op_sel_hi:[0,1,1]
	v_pk_mul_f16 v48, v48, s46 op_sel_hi:[0,1]
	v_pk_add_f16 v13, v13, v47
	;; [unrolled: 5-line block ×3, first 2 shown]
	v_pk_fma_f16 v46, v41, s45, v48 op_sel_hi:[0,1,1] neg_lo:[0,0,1] neg_hi:[0,0,1]
	v_pk_add_f16 v2, v2, v55
	v_pk_fma_f16 v55, v45, s47, v38 op_sel_hi:[0,1,1]
	v_pk_add_f16 v13, v13, v46
	v_pk_fma_f16 v38, v45, s47, v38 op_sel_hi:[0,1,1] neg_lo:[0,0,1] neg_hi:[0,0,1]
	v_pk_add_f16 v2, v2, v55
	v_pk_add_f16 v38, v13, v38
	v_add_u32_e32 v13, 0x5b, v10
	v_alignbit_b32 v55, v50, v50, 16
	v_alignbit_b32 v46, v57, v57, 16
	;; [unrolled: 1-line block ×3, first 2 shown]
	s_waitcnt lgkmcnt(0)
	s_barrier
	ds_write_b16 v3, v81
	ds_write_b128 v3, v[52:55] offset:2
	ds_write_b64 v3, v[46:47] offset:18
	s_and_saveexec_b64 s[6:7], s[2:3]
	s_cbranch_execz .LBB0_21
; %bb.20:
	v_pk_mul_f16 v3, v21, s8 op_sel_hi:[0,1]
	s_mov_b32 s2, 0x5040100
	v_perm_b32 v46, v22, v22, s2
	v_pk_mul_f16 v47, v24, s9 op_sel_hi:[0,1]
	v_pk_add_f16 v3, v3, v14 neg_lo:[0,1] neg_hi:[0,1]
	v_pk_mul_f16 v48, v43, s14 op_sel_hi:[0,1]
	v_pk_add_f16 v3, v46, v3
	v_pk_add_f16 v14, v47, v15 neg_lo:[0,1] neg_hi:[0,1]
	v_pk_mul_f16 v49, v42, s15 op_sel_hi:[0,1]
	v_add_f16_e32 v22, v22, v26
	v_pk_add_f16 v3, v3, v14
	v_pk_add_f16 v14, v48, v16 neg_lo:[0,1] neg_hi:[0,1]
	v_pk_mul_f16 v50, v41, s16 op_sel_hi:[0,1]
	v_add_f16_e32 v22, v22, v27
	;; [unrolled: 4-line block ×9, first 2 shown]
	v_pk_add_f16 v3, v3, v14
	v_pk_add_f16 v14, v41, v40 neg_lo:[0,1] neg_hi:[0,1]
	v_add_f16_e32 v22, v33, v22
	v_pk_add_f16 v3, v3, v14
	v_pk_add_f16 v14, v45, v44 neg_lo:[0,1] neg_hi:[0,1]
	v_add_f16_e32 v22, v32, v22
	v_pk_add_f16 v14, v3, v14
	v_mul_u32_u24_e32 v3, 26, v13
	v_add_f16_e32 v22, v37, v22
	v_add3_u32 v16, 0, v3, v9
	v_alignbit_b32 v3, v38, v38, 16
	v_alignbit_b32 v14, v14, v14, 16
	;; [unrolled: 1-line block ×3, first 2 shown]
	ds_write_b16 v16, v22
	ds_write_b128 v16, v[0:3] offset:2
	ds_write_b64 v16, v[14:15] offset:18
.LBB0_21:
	s_or_b64 exec, exec, s[6:7]
	s_waitcnt lgkmcnt(0)
	s_barrier
	ds_read_u16 v15, v11
	ds_read_u16 v18, v12 offset:1560
	ds_read_u16 v16, v12 offset:1352
	;; [unrolled: 1-line block ×13, first 2 shown]
	v_lshrrev_b32_e32 v26, 16, v38
	s_and_saveexec_b64 s[2:3], s[0:1]
	s_cbranch_execz .LBB0_23
; %bb.22:
	ds_read_u16 v0, v12 offset:364
	ds_read_u16 v1, v12 offset:754
	;; [unrolled: 1-line block ×7, first 2 shown]
	s_mov_b32 s6, 0x5040100
	s_waitcnt lgkmcnt(5)
	v_perm_b32 v0, v1, v0, s6
	s_waitcnt lgkmcnt(3)
	v_perm_b32 v1, v3, v2, s6
	;; [unrolled: 2-line block ×3, first 2 shown]
.LBB0_23:
	s_or_b64 exec, exec, s[2:3]
	s_movk_i32 s2, 0x4f
	v_mul_lo_u16_sdwa v3, v10, s2 dst_sel:DWORD dst_unused:UNUSED_PAD src0_sel:BYTE_0 src1_sel:DWORD
	v_mul_lo_u16_sdwa v34, v13, s2 dst_sel:DWORD dst_unused:UNUSED_PAD src0_sel:BYTE_0 src1_sel:DWORD
	v_lshrrev_b16_e32 v62, 10, v3
	v_lshrrev_b16_e32 v66, 10, v34
	v_mul_lo_u16_e32 v3, 13, v62
	v_mul_lo_u16_e32 v34, 13, v66
	v_sub_u16_e32 v65, v10, v3
	v_mov_b32_e32 v3, 6
	v_sub_u16_e32 v81, v13, v34
	v_mul_u32_u24_sdwa v29, v65, v3 dst_sel:DWORD dst_unused:UNUSED_PAD src0_sel:BYTE_0 src1_sel:DWORD
	v_mul_u32_u24_sdwa v3, v81, v3 dst_sel:DWORD dst_unused:UNUSED_PAD src0_sel:BYTE_0 src1_sel:DWORD
	v_lshlrev_b32_e32 v39, 2, v3
	v_add_u32_e32 v3, 0xb6, v10
	s_movk_i32 s2, 0x4ec5
	v_mul_u32_u24_sdwa v40, v3, s2 dst_sel:DWORD dst_unused:UNUSED_PAD src0_sel:WORD_0 src1_sel:DWORD
	v_lshrrev_b32_e32 v40, 18, v40
	v_mul_lo_u16_e32 v40, 13, v40
	v_lshlrev_b32_e32 v33, 2, v29
	v_sub_u16_e32 v82, v3, v40
	global_load_dwordx4 v[29:32], v33, s[12:13]
	global_load_dwordx2 v[37:38], v33, s[12:13] offset:16
	global_load_dwordx2 v[57:58], v39, s[12:13] offset:16
	v_lshrrev_b32_e32 v83, 16, v51
	global_load_dwordx4 v[33:36], v39, s[12:13]
	v_mul_u32_u24_e32 v39, 6, v82
	v_lshlrev_b32_e32 v39, 2, v39
	global_load_dwordx4 v[53:56], v39, s[12:13]
	global_load_dwordx2 v[59:60], v39, s[12:13] offset:16
	v_lshrrev_b32_e32 v84, 16, v0
	v_lshrrev_b32_e32 v85, 16, v61
	v_lshrrev_b32_e32 v86, 16, v1
	s_movk_i32 s7, 0x2b26
	s_movk_i32 s6, 0x3b00
	s_mov_b32 s8, 0xbcab
	s_movk_i32 s9, 0x39e0
	s_mov_b32 s14, 0xb9e0
	;; [unrolled: 2-line block ×3, first 2 shown]
	s_movk_i32 s16, 0x370e
	s_movk_i32 s2, 0xb6
	s_waitcnt vmcnt(0) lgkmcnt(0)
	s_barrier
	v_mul_f16_sdwa v41, v80, v29 dst_sel:DWORD dst_unused:UNUSED_PAD src0_sel:DWORD src1_sel:WORD_1
	v_mul_f16_sdwa v42, v25, v30 dst_sel:DWORD dst_unused:UNUSED_PAD src0_sel:DWORD src1_sel:WORD_1
	;; [unrolled: 1-line block ×11, first 2 shown]
	v_fma_f16 v43, v28, v29, v41
	v_fma_f16 v41, v78, v30, -v42
	v_fma_f16 v42, v76, v31, -v45
	v_fma_f16 v45, v23, v31, v46
	v_fma_f16 v28, v72, v34, -v90
	v_fma_f16 v31, v19, v34, v91
	v_fma_f16 v34, v22, v36, v95
	v_mul_f16_sdwa v22, v64, v56 dst_sel:DWORD dst_unused:UNUSED_PAD src0_sel:DWORD src1_sel:WORD_1
	v_mul_f16_sdwa v47, v18, v32 dst_sel:DWORD dst_unused:UNUSED_PAD src0_sel:DWORD src1_sel:WORD_1
	v_mul_f16_sdwa v48, v71, v32 dst_sel:DWORD dst_unused:UNUSED_PAD src0_sel:DWORD src1_sel:WORD_1
	v_mul_f16_sdwa v49, v27, v37 dst_sel:DWORD dst_unused:UNUSED_PAD src0_sel:DWORD src1_sel:WORD_1
	v_mul_f16_sdwa v50, v79, v37 dst_sel:DWORD dst_unused:UNUSED_PAD src0_sel:DWORD src1_sel:WORD_1
	v_mul_f16_sdwa v52, v24, v38 dst_sel:DWORD dst_unused:UNUSED_PAD src0_sel:DWORD src1_sel:WORD_1
	v_mul_f16_sdwa v87, v77, v38 dst_sel:DWORD dst_unused:UNUSED_PAD src0_sel:DWORD src1_sel:WORD_1
	v_mul_f16_sdwa v88, v21, v33 dst_sel:DWORD dst_unused:UNUSED_PAD src0_sel:DWORD src1_sel:WORD_1
	v_fma_f16 v44, v25, v30, v44
	v_fma_f16 v30, v21, v33, v89
	v_mul_f16_sdwa v21, v2, v56 dst_sel:DWORD dst_unused:UNUSED_PAD src0_sel:DWORD src1_sel:WORD_1
	v_fma_f16 v22, v2, v56, v22
	v_lshrrev_b32_e32 v2, 16, v2
	v_fma_f16 v46, v71, v32, -v47
	v_fma_f16 v47, v18, v32, v48
	v_fma_f16 v48, v79, v37, -v49
	v_fma_f16 v49, v27, v37, v50
	;; [unrolled: 2-line block ×3, first 2 shown]
	v_lshrrev_b32_e32 v24, 16, v64
	v_mul_f16_sdwa v23, v2, v59 dst_sel:DWORD dst_unused:UNUSED_PAD src0_sel:DWORD src1_sel:WORD_1
	v_fma_f16 v23, v24, v59, -v23
	v_mul_f16_sdwa v24, v24, v59 dst_sel:DWORD dst_unused:UNUSED_PAD src0_sel:DWORD src1_sel:WORD_1
	v_fma_f16 v24, v2, v59, v24
	v_mul_f16_sdwa v2, v26, v60 dst_sel:DWORD dst_unused:UNUSED_PAD src0_sel:DWORD src1_sel:WORD_1
	v_mul_f16_sdwa v93, v69, v35 dst_sel:DWORD dst_unused:UNUSED_PAD src0_sel:DWORD src1_sel:WORD_1
	;; [unrolled: 1-line block ×6, first 2 shown]
	v_fma_f16 v40, v80, v29, -v39
	v_fma_f16 v25, v63, v60, -v2
	v_mul_f16_sdwa v2, v63, v60 dst_sel:DWORD dst_unused:UNUSED_PAD src0_sel:DWORD src1_sel:WORD_1
	v_mul_f16_sdwa v92, v16, v35 dst_sel:DWORD dst_unused:UNUSED_PAD src0_sel:DWORD src1_sel:WORD_1
	;; [unrolled: 1-line block ×5, first 2 shown]
	v_fma_f16 v27, v74, v33, -v88
	v_fma_f16 v32, v16, v35, v93
	v_fma_f16 v33, v75, v36, -v94
	v_fma_f16 v36, v20, v57, v97
	;; [unrolled: 2-line block ×3, first 2 shown]
	v_fma_f16 v19, v1, v54, v103
	v_mul_f16_sdwa v1, v86, v55 dst_sel:DWORD dst_unused:UNUSED_PAD src0_sel:DWORD src1_sel:WORD_1
	v_mul_f16_sdwa v20, v85, v55 dst_sel:DWORD dst_unused:UNUSED_PAD src0_sel:DWORD src1_sel:WORD_1
	v_fma_f16 v26, v26, v60, v2
	v_add_f16_e32 v2, v40, v50
	v_add_f16_e32 v53, v41, v48
	v_mul_f16_sdwa v98, v17, v58 dst_sel:DWORD dst_unused:UNUSED_PAD src0_sel:DWORD src1_sel:WORD_1
	v_fma_f16 v29, v69, v35, -v92
	v_fma_f16 v35, v73, v57, -v96
	v_fma_f16 v39, v17, v58, v99
	v_fma_f16 v17, v61, v54, -v102
	v_fma_f16 v1, v85, v55, -v1
	v_fma_f16 v20, v86, v55, v20
	v_fma_f16 v21, v64, v56, -v21
	v_sub_f16_e32 v37, v43, v52
	v_sub_f16_e32 v54, v44, v49
	v_add_f16_e32 v55, v42, v46
	v_sub_f16_e32 v56, v47, v45
	v_add_f16_e32 v57, v53, v2
	v_fma_f16 v38, v70, v58, -v98
	v_sub_f16_e32 v58, v53, v2
	v_sub_f16_e32 v2, v2, v55
	;; [unrolled: 1-line block ×3, first 2 shown]
	v_add_f16_e32 v59, v56, v54
	v_sub_f16_e32 v60, v56, v54
	v_sub_f16_e32 v54, v54, v37
	v_add_f16_e32 v55, v55, v57
	v_sub_f16_e32 v56, v37, v56
	v_add_f16_e32 v37, v59, v37
	v_add_f16_e32 v57, v68, v55
	v_mul_f16_e32 v2, 0x3a52, v2
	v_mul_f16_e32 v59, 0x2b26, v53
	;; [unrolled: 1-line block ×4, first 2 shown]
	v_fma_f16 v55, v55, s8, v57
	v_fma_f16 v53, v53, s7, v2
	v_fma_f16 v59, v58, s9, -v59
	v_fma_f16 v2, v58, s14, -v2
	v_fma_f16 v58, v56, s15, v60
	v_fma_f16 v54, v54, s6, -v60
	v_fma_f16 v56, v56, s17, -v61
	v_add_f16_e32 v53, v53, v55
	v_add_f16_e32 v59, v59, v55
	;; [unrolled: 1-line block ×3, first 2 shown]
	v_fma_f16 v55, v37, s16, v58
	v_fma_f16 v54, v37, s16, v54
	;; [unrolled: 1-line block ×3, first 2 shown]
	v_add_f16_e32 v56, v55, v53
	v_add_f16_e32 v58, v37, v2
	v_sub_f16_e32 v60, v59, v54
	v_add_f16_e32 v54, v54, v59
	v_sub_f16_e32 v2, v2, v37
	v_sub_f16_e32 v37, v53, v55
	v_add_f16_e32 v53, v27, v38
	v_add_f16_e32 v59, v28, v35
	v_sub_f16_e32 v55, v30, v39
	v_sub_f16_e32 v61, v31, v36
	v_add_f16_e32 v63, v29, v33
	v_sub_f16_e32 v64, v34, v32
	v_add_f16_e32 v68, v59, v53
	v_sub_f16_e32 v69, v59, v53
	v_sub_f16_e32 v53, v53, v63
	;; [unrolled: 1-line block ×3, first 2 shown]
	v_add_f16_e32 v70, v64, v61
	v_sub_f16_e32 v71, v64, v61
	v_sub_f16_e32 v61, v61, v55
	v_add_f16_e32 v63, v63, v68
	v_sub_f16_e32 v64, v55, v64
	v_add_f16_e32 v55, v70, v55
	v_add_f16_e32 v67, v67, v63
	v_mul_f16_e32 v53, 0x3a52, v53
	v_mul_f16_e32 v68, 0x2b26, v59
	;; [unrolled: 1-line block ×4, first 2 shown]
	v_fma_f16 v63, v63, s8, v67
	v_fma_f16 v59, v59, s7, v53
	v_fma_f16 v68, v69, s9, -v68
	v_fma_f16 v53, v69, s14, -v53
	v_fma_f16 v69, v64, s15, v70
	v_fma_f16 v61, v61, s6, -v70
	v_fma_f16 v64, v64, s17, -v71
	v_add_f16_e32 v59, v59, v63
	v_add_f16_e32 v68, v68, v63
	;; [unrolled: 1-line block ×3, first 2 shown]
	v_fma_f16 v63, v55, s16, v69
	v_fma_f16 v61, v55, s16, v61
	;; [unrolled: 1-line block ×3, first 2 shown]
	v_add_f16_e32 v69, v55, v53
	v_sub_f16_e32 v55, v53, v55
	v_mad_u32_u24 v53, v62, s2, 0
	v_mov_b32_e32 v62, 1
	v_add_f16_e32 v64, v63, v59
	v_sub_f16_e32 v59, v59, v63
	v_lshlrev_b32_sdwa v63, v62, v65 dst_sel:DWORD dst_unused:UNUSED_PAD src0_sel:DWORD src1_sel:BYTE_0
	v_add3_u32 v53, v53, v63, v9
	ds_write_b16 v53, v57
	ds_write_b16 v53, v56 offset:26
	ds_write_b16 v53, v58 offset:52
	;; [unrolled: 1-line block ×6, first 2 shown]
	v_mad_u32_u24 v2, v66, s2, 0
	v_lshlrev_b32_sdwa v37, v62, v81 dst_sel:DWORD dst_unused:UNUSED_PAD src0_sel:DWORD src1_sel:BYTE_0
	v_add3_u32 v54, v2, v37, v9
	v_lshlrev_b32_e32 v37, 1, v82
	v_sub_f16_e32 v70, v68, v61
	v_add_f16_e32 v61, v61, v68
	ds_write_b16 v54, v67
	ds_write_b16 v54, v64 offset:26
	ds_write_b16 v54, v69 offset:52
	;; [unrolled: 1-line block ×6, first 2 shown]
	s_and_saveexec_b64 s[2:3], s[0:1]
	s_cbranch_execz .LBB0_25
; %bb.24:
	v_add_f16_e32 v2, v16, v25
	v_add_f16_e32 v57, v17, v23
	;; [unrolled: 1-line block ×4, first 2 shown]
	v_sub_f16_e32 v61, v22, v20
	v_sub_f16_e32 v63, v19, v24
	;; [unrolled: 1-line block ×4, first 2 shown]
	v_add_f16_e32 v55, v55, v60
	v_sub_f16_e32 v60, v18, v26
	v_sub_f16_e32 v64, v61, v63
	v_mul_f16_e32 v56, 0x3a52, v56
	v_mul_f16_e32 v59, 0x2b26, v58
	v_add_f16_e32 v51, v51, v55
	v_sub_f16_e32 v62, v60, v61
	v_mul_f16_e32 v64, 0xb846, v64
	v_add_f16_e32 v61, v61, v63
	v_sub_f16_e32 v2, v57, v2
	v_sub_f16_e32 v57, v63, v60
	v_fma_f16 v58, v58, s7, v56
	v_fma_f16 v55, v55, s8, v51
	;; [unrolled: 1-line block ×3, first 2 shown]
	v_add_f16_e32 v61, v61, v60
	v_fma_f16 v56, v2, s14, -v56
	v_mul_f16_e32 v60, 0x3b00, v57
	v_fma_f16 v57, v57, s6, -v64
	v_fma_f16 v2, v2, s9, -v59
	v_add_f16_e32 v58, v58, v55
	v_fma_f16 v65, v61, s16, v65
	v_fma_f16 v60, v62, s17, -v60
	v_fma_f16 v57, v61, s16, v57
	v_add_f16_e32 v2, v2, v55
	v_sub_f16_e32 v66, v58, v65
	v_add_f16_e32 v56, v56, v55
	v_fma_f16 v60, v61, s16, v60
	v_add_f16_e32 v55, v57, v2
	v_sub_f16_e32 v2, v2, v57
	v_add_f16_e32 v57, v65, v58
	v_add3_u32 v58, 0, v37, v9
	v_sub_f16_e32 v62, v56, v60
	v_add_f16_e32 v56, v60, v56
	ds_write_b16 v58, v51 offset:2548
	ds_write_b16 v58, v57 offset:2574
	ds_write_b16 v58, v56 offset:2600
	ds_write_b16 v58, v2 offset:2626
	ds_write_b16 v58, v55 offset:2652
	ds_write_b16 v58, v62 offset:2678
	ds_write_b16 v58, v66 offset:2704
.LBB0_25:
	s_or_b64 exec, exec, s[2:3]
	v_add_f16_e32 v2, v43, v52
	v_add_f16_e32 v43, v44, v49
	v_sub_f16_e32 v40, v40, v50
	v_sub_f16_e32 v41, v41, v48
	v_add_f16_e32 v44, v45, v47
	v_sub_f16_e32 v42, v46, v42
	v_add_f16_e32 v45, v43, v2
	v_sub_f16_e32 v46, v43, v2
	v_sub_f16_e32 v2, v2, v44
	v_sub_f16_e32 v43, v44, v43
	v_add_f16_e32 v47, v42, v41
	v_sub_f16_e32 v48, v42, v41
	v_sub_f16_e32 v41, v41, v40
	v_add_f16_e32 v44, v44, v45
	v_sub_f16_e32 v42, v40, v42
	v_add_f16_e32 v40, v47, v40
	v_add_f16_e32 v45, v15, v44
	v_mul_f16_e32 v2, 0x3a52, v2
	v_mul_f16_e32 v15, 0x2b26, v43
	;; [unrolled: 1-line block ×4, first 2 shown]
	v_fma_f16 v44, v44, s8, v45
	v_fma_f16 v43, v43, s7, v2
	v_fma_f16 v15, v46, s9, -v15
	v_fma_f16 v2, v46, s14, -v2
	v_fma_f16 v46, v42, s15, v47
	v_fma_f16 v41, v41, s6, -v47
	v_fma_f16 v42, v42, s17, -v48
	v_add_f16_e32 v43, v43, v44
	v_add_f16_e32 v15, v15, v44
	;; [unrolled: 1-line block ×3, first 2 shown]
	v_fma_f16 v44, v40, s16, v46
	v_fma_f16 v41, v40, s16, v41
	v_fma_f16 v40, v40, s16, v42
	v_sub_f16_e32 v46, v2, v40
	v_add_f16_e32 v47, v41, v15
	v_sub_f16_e32 v41, v15, v41
	v_add_f16_e32 v48, v40, v2
	v_add_f16_e32 v2, v30, v39
	v_sub_f16_e32 v15, v27, v38
	v_add_f16_e32 v27, v31, v36
	v_sub_f16_e32 v28, v28, v35
	;; [unrolled: 2-line block ×4, first 2 shown]
	v_sub_f16_e32 v2, v2, v30
	v_sub_f16_e32 v27, v30, v27
	v_add_f16_e32 v33, v29, v28
	v_sub_f16_e32 v34, v29, v28
	v_sub_f16_e32 v28, v28, v15
	v_add_f16_e32 v30, v30, v31
	v_sub_f16_e32 v42, v43, v44
	v_add_f16_e32 v43, v44, v43
	;; [unrolled: 2-line block ×3, first 2 shown]
	v_add_f16_e32 v44, v14, v30
	v_mul_f16_e32 v2, 0x3a52, v2
	v_mul_f16_e32 v14, 0x2b26, v27
	;; [unrolled: 1-line block ×4, first 2 shown]
	v_fma_f16 v30, v30, s8, v44
	v_fma_f16 v27, v27, s7, v2
	v_fma_f16 v14, v32, s9, -v14
	v_fma_f16 v2, v32, s14, -v2
	v_fma_f16 v32, v29, s15, v31
	v_fma_f16 v28, v28, s6, -v31
	v_fma_f16 v29, v29, s17, -v33
	v_add_f16_e32 v27, v27, v30
	v_add_f16_e32 v14, v14, v30
	;; [unrolled: 1-line block ×3, first 2 shown]
	v_fma_f16 v30, v15, s16, v32
	v_fma_f16 v28, v15, s16, v28
	;; [unrolled: 1-line block ×3, first 2 shown]
	v_sub_f16_e32 v49, v27, v30
	v_sub_f16_e32 v50, v2, v15
	v_add_f16_e32 v51, v28, v14
	v_sub_f16_e32 v52, v14, v28
	v_add_f16_e32 v55, v15, v2
	v_add_f16_e32 v56, v30, v27
	s_waitcnt lgkmcnt(0)
	s_barrier
	v_add3_u32 v2, 0, v8, v9
	ds_read_u16 v27, v11
	ds_read_u16 v15, v12 offset:182
	ds_read_u16 v34, v2 offset:728
	;; [unrolled: 1-line block ×14, first 2 shown]
	s_waitcnt lgkmcnt(0)
	s_barrier
	ds_write_b16 v53, v45
	ds_write_b16 v53, v42 offset:26
	ds_write_b16 v53, v46 offset:52
	;; [unrolled: 1-line block ×6, first 2 shown]
	ds_write_b16 v54, v44
	ds_write_b16 v54, v49 offset:26
	ds_write_b16 v54, v50 offset:52
	;; [unrolled: 1-line block ×6, first 2 shown]
	s_and_saveexec_b64 s[2:3], s[0:1]
	s_cbranch_execz .LBB0_27
; %bb.26:
	v_add_f16_e32 v18, v18, v26
	v_add_f16_e32 v19, v19, v24
	;; [unrolled: 1-line block ×3, first 2 shown]
	v_sub_f16_e32 v1, v21, v1
	v_add_f16_e32 v21, v19, v18
	v_sub_f16_e32 v22, v19, v18
	v_sub_f16_e32 v18, v18, v20
	;; [unrolled: 1-line block ×3, first 2 shown]
	v_mul_f16_e32 v18, 0x3a52, v18
	s_movk_i32 s0, 0x2b26
	v_sub_f16_e32 v17, v17, v23
	v_add_f16_e32 v20, v20, v21
	v_mul_f16_e32 v21, 0x2b26, v19
	v_fma_f16 v19, v19, s0, v18
	s_movk_i32 s0, 0x39e0
	v_sub_f16_e32 v16, v16, v25
	v_add_f16_e32 v23, v1, v17
	v_sub_f16_e32 v24, v1, v17
	v_fma_f16 v21, v22, s0, -v21
	s_mov_b32 s0, 0xb9e0
	v_sub_f16_e32 v1, v16, v1
	v_sub_f16_e32 v17, v17, v16
	v_add_f16_e32 v16, v23, v16
	v_mul_f16_e32 v23, 0xb846, v24
	v_fma_f16 v18, v22, s0, -v18
	s_movk_i32 s0, 0x3574
	v_add_f16_e32 v0, v0, v20
	v_mul_f16_e32 v24, 0x3b00, v17
	s_mov_b32 s6, 0xbcab
	v_fma_f16 v22, v1, s0, v23
	s_mov_b32 s0, 0xb574
	s_movk_i32 s1, 0x3b00
	v_fma_f16 v20, v20, s6, v0
	v_fma_f16 v1, v1, s0, -v24
	s_movk_i32 s0, 0x370e
	v_fma_f16 v17, v17, s1, -v23
	v_add_f16_e32 v19, v19, v20
	v_add_f16_e32 v21, v21, v20
	;; [unrolled: 1-line block ×3, first 2 shown]
	v_fma_f16 v20, v16, s0, v22
	v_fma_f16 v1, v16, s0, v1
	;; [unrolled: 1-line block ×3, first 2 shown]
	v_sub_f16_e32 v16, v19, v20
	v_sub_f16_e32 v22, v18, v1
	v_add_f16_e32 v1, v1, v18
	v_add_f16_e32 v18, v20, v19
	v_add3_u32 v19, 0, v37, v9
	v_add_f16_e32 v23, v17, v21
	v_sub_f16_e32 v17, v21, v17
	ds_write_b16 v19, v0 offset:2548
	ds_write_b16 v19, v16 offset:2574
	;; [unrolled: 1-line block ×7, first 2 shown]
.LBB0_27:
	s_or_b64 exec, exec, s[2:3]
	v_lshlrev_b32_e32 v0, 2, v10
	v_mov_b32_e32 v1, 0
	v_lshlrev_b64 v[16:17], 2, v[0:1]
	v_mov_b32_e32 v0, s13
	v_add_co_u32_e64 v16, s[0:1], s12, v16
	v_addc_co_u32_e64 v17, s[0:1], v0, v17, s[0:1]
	s_movk_i32 s0, 0x6817
	v_mul_u32_u24_sdwa v0, v3, s0 dst_sel:DWORD dst_unused:UNUSED_PAD src0_sel:WORD_0 src1_sel:DWORD
	v_sub_u16_sdwa v20, v3, v0 dst_sel:DWORD dst_unused:UNUSED_PAD src0_sel:DWORD src1_sel:WORD_1
	v_lshrrev_b16_e32 v20, 1, v20
	v_add_u16_sdwa v0, v20, v0 dst_sel:DWORD dst_unused:UNUSED_PAD src0_sel:DWORD src1_sel:WORD_1
	v_lshrrev_b16_e32 v0, 6, v0
	v_mul_lo_u16_e32 v0, 0x5b, v0
	s_waitcnt lgkmcnt(0)
	s_barrier
	global_load_dwordx4 v[16:19], v[16:17], off offset:312
	v_sub_u16_e32 v0, v3, v0
	v_lshlrev_b32_e32 v20, 4, v0
	global_load_dwordx4 v[20:23], v20, s[12:13] offset:312
	ds_read_u16 v24, v11
	ds_read_u16 v25, v12 offset:182
	ds_read_u16 v26, v2 offset:728
	;; [unrolled: 1-line block ×14, first 2 shown]
	s_movk_i32 s0, 0x3b9c
	s_mov_b32 s3, 0xbb9c
	s_movk_i32 s1, 0x38b4
	s_mov_b32 s6, 0xb8b4
	s_movk_i32 s2, 0x34f2
	v_lshlrev_b32_e32 v0, 1, v0
	v_add3_u32 v0, 0, v0, v9
	s_waitcnt vmcnt(0) lgkmcnt(0)
	s_barrier
	v_mul_f16_sdwa v54, v42, v17 dst_sel:DWORD dst_unused:UNUSED_PAD src0_sel:DWORD src1_sel:WORD_1
	v_mul_f16_sdwa v56, v50, v18 dst_sel:DWORD dst_unused:UNUSED_PAD src0_sel:DWORD src1_sel:WORD_1
	;; [unrolled: 1-line block ×13, first 2 shown]
	v_fma_f16 v36, v36, v17, -v54
	v_fma_f16 v40, v40, v18, -v56
	v_mul_f16_sdwa v58, v48, v19 dst_sel:DWORD dst_unused:UNUSED_PAD src0_sel:DWORD src1_sel:WORD_1
	v_mul_f16_sdwa v66, v46, v19 dst_sel:DWORD dst_unused:UNUSED_PAD src0_sel:DWORD src1_sel:WORD_1
	;; [unrolled: 1-line block ×3, first 2 shown]
	v_fma_f16 v38, v38, v16, -v52
	v_fma_f16 v44, v44, v16, v53
	v_fma_f16 v42, v42, v17, v55
	;; [unrolled: 1-line block ×4, first 2 shown]
	v_fma_f16 v34, v34, v16, -v60
	v_fma_f16 v16, v26, v16, v61
	v_fma_f16 v26, v33, v17, -v62
	v_fma_f16 v17, v37, v17, v63
	v_fma_f16 v32, v32, v18, -v64
	v_fma_f16 v18, v41, v18, v65
	v_add_f16_e32 v37, v36, v40
	v_mul_f16_sdwa v41, v43, v20 dst_sel:DWORD dst_unused:UNUSED_PAD src0_sel:DWORD src1_sel:WORD_1
	v_fma_f16 v39, v39, v19, -v58
	v_fma_f16 v33, v35, v19, -v66
	v_fma_f16 v19, v46, v19, v67
	v_fma_f16 v37, v37, -0.5, v27
	v_mul_f16_sdwa v46, v28, v20 dst_sel:DWORD dst_unused:UNUSED_PAD src0_sel:DWORD src1_sel:WORD_1
	v_mul_f16_sdwa v54, v49, v22 dst_sel:DWORD dst_unused:UNUSED_PAD src0_sel:DWORD src1_sel:WORD_1
	;; [unrolled: 1-line block ×5, first 2 shown]
	v_fma_f16 v28, v28, v20, -v41
	v_sub_f16_e32 v41, v44, v48
	v_fma_f16 v20, v43, v20, v46
	v_fma_f16 v30, v30, v22, -v54
	v_fma_f16 v22, v49, v22, v55
	v_fma_f16 v29, v29, v23, -v56
	v_fma_f16 v23, v47, v23, v57
	v_fma_f16 v43, v41, s0, v37
	v_sub_f16_e32 v46, v42, v50
	v_sub_f16_e32 v47, v38, v36
	;; [unrolled: 1-line block ×3, first 2 shown]
	v_fma_f16 v37, v41, s3, v37
	v_fma_f16 v43, v46, s1, v43
	v_add_f16_e32 v47, v47, v49
	v_fma_f16 v37, v46, s6, v37
	v_fma_f16 v43, v47, s2, v43
	;; [unrolled: 1-line block ×3, first 2 shown]
	v_add_f16_e32 v47, v38, v39
	v_add_f16_e32 v35, v27, v38
	v_mul_f16_sdwa v52, v51, v21 dst_sel:DWORD dst_unused:UNUSED_PAD src0_sel:DWORD src1_sel:WORD_1
	v_mul_f16_sdwa v53, v31, v21 dst_sel:DWORD dst_unused:UNUSED_PAD src0_sel:DWORD src1_sel:WORD_1
	v_fma_f16 v27, v47, -0.5, v27
	v_add_f16_e32 v35, v35, v36
	v_fma_f16 v31, v31, v21, -v52
	v_fma_f16 v21, v51, v21, v53
	v_fma_f16 v47, v46, s3, v27
	v_sub_f16_e32 v49, v36, v38
	v_sub_f16_e32 v51, v40, v39
	v_fma_f16 v27, v46, s0, v27
	v_add_f16_e32 v46, v42, v50
	v_add_f16_e32 v35, v35, v40
	v_fma_f16 v47, v41, s1, v47
	v_add_f16_e32 v49, v49, v51
	v_fma_f16 v27, v41, s6, v27
	v_fma_f16 v46, v46, -0.5, v24
	v_sub_f16_e32 v38, v38, v39
	v_add_f16_e32 v35, v35, v39
	v_fma_f16 v47, v49, s2, v47
	v_fma_f16 v27, v49, s2, v27
	;; [unrolled: 1-line block ×3, first 2 shown]
	v_sub_f16_e32 v36, v36, v40
	v_sub_f16_e32 v40, v44, v42
	;; [unrolled: 1-line block ×3, first 2 shown]
	v_fma_f16 v46, v38, s0, v46
	v_fma_f16 v39, v36, s6, v39
	v_add_f16_e32 v40, v40, v49
	v_fma_f16 v46, v36, s1, v46
	v_fma_f16 v39, v40, s2, v39
	;; [unrolled: 1-line block ×3, first 2 shown]
	v_add_f16_e32 v46, v44, v48
	v_add_f16_e32 v41, v24, v44
	v_fma_f16 v24, v46, -0.5, v24
	v_add_f16_e32 v41, v41, v42
	v_fma_f16 v46, v36, s0, v24
	v_sub_f16_e32 v42, v42, v44
	v_sub_f16_e32 v44, v50, v48
	v_fma_f16 v24, v36, s3, v24
	v_fma_f16 v46, v38, s6, v46
	v_add_f16_e32 v42, v42, v44
	v_fma_f16 v24, v38, s1, v24
	v_add_f16_e32 v38, v26, v32
	v_add_f16_e32 v41, v41, v50
	v_fma_f16 v44, v42, s2, v46
	v_fma_f16 v36, v42, s2, v24
	v_fma_f16 v38, v38, -0.5, v15
	v_sub_f16_e32 v42, v16, v19
	v_add_f16_e32 v41, v41, v48
	v_fma_f16 v46, v42, s0, v38
	v_sub_f16_e32 v48, v17, v18
	v_sub_f16_e32 v49, v34, v26
	;; [unrolled: 1-line block ×3, first 2 shown]
	v_fma_f16 v38, v42, s3, v38
	v_fma_f16 v46, v48, s1, v46
	v_add_f16_e32 v49, v49, v50
	v_fma_f16 v38, v48, s6, v38
	v_add_f16_e32 v24, v15, v34
	v_fma_f16 v46, v49, s2, v46
	v_fma_f16 v38, v49, s2, v38
	v_add_f16_e32 v49, v34, v33
	v_add_f16_e32 v24, v24, v26
	v_fma_f16 v15, v49, -0.5, v15
	v_add_f16_e32 v24, v24, v32
	v_fma_f16 v49, v48, s3, v15
	v_fma_f16 v15, v48, s0, v15
	v_add_f16_e32 v48, v17, v18
	v_add_f16_e32 v24, v24, v33
	v_sub_f16_e32 v50, v26, v34
	v_sub_f16_e32 v51, v32, v33
	v_fma_f16 v48, v48, -0.5, v25
	v_sub_f16_e32 v33, v34, v33
	v_fma_f16 v49, v42, s1, v49
	v_add_f16_e32 v50, v50, v51
	v_fma_f16 v15, v42, s6, v15
	v_fma_f16 v34, v33, s3, v48
	v_sub_f16_e32 v26, v26, v32
	v_fma_f16 v49, v50, s2, v49
	v_fma_f16 v15, v50, s2, v15
	;; [unrolled: 1-line block ×3, first 2 shown]
	v_sub_f16_e32 v34, v16, v17
	v_sub_f16_e32 v50, v19, v18
	v_fma_f16 v48, v33, s0, v48
	v_add_f16_e32 v34, v34, v50
	v_fma_f16 v48, v26, s1, v48
	v_add_f16_e32 v42, v25, v16
	v_fma_f16 v32, v34, s2, v32
	v_fma_f16 v34, v34, s2, v48
	v_add_f16_e32 v48, v16, v19
	v_add_f16_e32 v42, v42, v17
	v_fma_f16 v25, v48, -0.5, v25
	v_sub_f16_e32 v16, v17, v16
	v_sub_f16_e32 v17, v18, v19
	v_add_f16_e32 v16, v16, v17
	v_fma_f16 v17, v26, s3, v25
	v_fma_f16 v48, v26, s0, v25
	;; [unrolled: 1-line block ×5, first 2 shown]
	v_add_f16_e32 v17, v31, v30
	v_add_f16_e32 v42, v42, v18
	v_fma_f16 v17, v17, -0.5, v14
	v_sub_f16_e32 v18, v20, v23
	v_add_f16_e32 v42, v42, v19
	v_fma_f16 v19, v18, s0, v17
	v_sub_f16_e32 v25, v21, v22
	v_sub_f16_e32 v26, v28, v31
	;; [unrolled: 1-line block ×3, first 2 shown]
	v_fma_f16 v17, v18, s3, v17
	v_fma_f16 v19, v25, s1, v19
	v_add_f16_e32 v26, v26, v50
	v_fma_f16 v17, v25, s6, v17
	v_fma_f16 v19, v26, s2, v19
	;; [unrolled: 1-line block ×3, first 2 shown]
	v_add_f16_e32 v26, v28, v29
	v_fma_f16 v48, v16, s2, v48
	v_add_f16_e32 v16, v14, v28
	v_fma_f16 v14, v26, -0.5, v14
	v_fma_f16 v26, v25, s3, v14
	v_fma_f16 v14, v25, s0, v14
	;; [unrolled: 1-line block ×4, first 2 shown]
	v_add_f16_e32 v18, v45, v20
	v_sub_f16_e32 v50, v31, v28
	v_sub_f16_e32 v51, v30, v29
	v_add_f16_e32 v18, v18, v21
	v_add_f16_e32 v50, v50, v51
	;; [unrolled: 1-line block ×4, first 2 shown]
	v_fma_f16 v26, v50, s2, v26
	v_fma_f16 v14, v50, s2, v14
	v_add_f16_e32 v50, v18, v23
	v_add_f16_e32 v18, v21, v22
	;; [unrolled: 1-line block ×3, first 2 shown]
	v_fma_f16 v18, v18, -0.5, v45
	v_sub_f16_e32 v25, v28, v29
	v_add_f16_e32 v16, v16, v29
	v_fma_f16 v28, v25, s3, v18
	v_sub_f16_e32 v29, v31, v30
	v_sub_f16_e32 v30, v20, v21
	;; [unrolled: 1-line block ×3, first 2 shown]
	v_fma_f16 v18, v25, s0, v18
	v_fma_f16 v28, v29, s6, v28
	v_add_f16_e32 v30, v30, v31
	v_fma_f16 v18, v29, s1, v18
	v_fma_f16 v31, v30, s2, v28
	;; [unrolled: 1-line block ×3, first 2 shown]
	v_add_f16_e32 v18, v20, v23
	v_fma_f16 v18, v18, -0.5, v45
	v_fma_f16 v28, v29, s0, v18
	v_sub_f16_e32 v20, v21, v20
	v_sub_f16_e32 v21, v22, v23
	v_fma_f16 v18, v29, s3, v18
	v_fma_f16 v28, v25, s6, v28
	v_add_f16_e32 v20, v20, v21
	v_fma_f16 v18, v25, s1, v18
	v_fma_f16 v45, v20, s2, v28
	v_fma_f16 v29, v20, s2, v18
	ds_write_b16 v2, v35
	ds_write_b16 v2, v43 offset:182
	ds_write_b16 v2, v47 offset:364
	;; [unrolled: 1-line block ×14, first 2 shown]
	s_waitcnt lgkmcnt(0)
	s_barrier
	ds_read_u16 v18, v2 offset:1092
	ds_read_u16 v21, v2 offset:1274
	ds_read_u16 v14, v11
	ds_read_u16 v16, v12 offset:182
	ds_read_u16 v20, v2 offset:364
	;; [unrolled: 1-line block ×12, first 2 shown]
	s_waitcnt lgkmcnt(0)
	s_barrier
	ds_write_b16 v2, v41
	ds_write_b16 v2, v39 offset:182
	ds_write_b16 v2, v44 offset:364
	;; [unrolled: 1-line block ×14, first 2 shown]
	s_waitcnt lgkmcnt(0)
	s_barrier
	s_and_saveexec_b64 s[0:1], vcc
	s_cbranch_execz .LBB0_29
; %bb.28:
	v_add_u32_e32 v0, 0x2d8, v8
	v_lshlrev_b64 v[29:30], 2, v[0:1]
	v_mov_b32_e32 v35, s13
	v_add_co_u32_e32 v29, vcc, s12, v29
	v_addc_co_u32_e32 v30, vcc, v35, v30, vcc
	global_load_dwordx2 v[29:30], v[29:30], off offset:1768
	v_add_u32_e32 v0, 0x222, v8
	v_lshlrev_b64 v[31:32], 2, v[0:1]
	v_lshlrev_b32_e32 v0, 1, v3
	v_add_co_u32_e32 v31, vcc, s12, v31
	v_addc_co_u32_e32 v32, vcc, v35, v32, vcc
	global_load_dwordx2 v[31:32], v[31:32], off offset:1768
	v_lshlrev_b64 v[33:34], 2, v[0:1]
	v_lshlrev_b32_e32 v0, 1, v13
	v_add_co_u32_e32 v33, vcc, s12, v33
	v_addc_co_u32_e32 v34, vcc, v35, v34, vcc
	global_load_dwordx2 v[33:34], v[33:34], off offset:1768
	v_mov_b32_e32 v9, v1
	v_lshlrev_b64 v[0:1], 2, v[0:1]
	ds_read_u16 v37, v2 offset:2548
	ds_read_u16 v38, v2 offset:2366
	;; [unrolled: 1-line block ×7, first 2 shown]
	v_add_co_u32_e32 v0, vcc, s12, v0
	v_addc_co_u32_e32 v1, vcc, v35, v1, vcc
	global_load_dwordx2 v[0:1], v[0:1], off offset:1768
	v_lshlrev_b64 v[8:9], 2, v[8:9]
	ds_read_u16 v13, v2 offset:1274
	ds_read_u16 v44, v2 offset:1092
	;; [unrolled: 1-line block ×3, first 2 shown]
	v_add_co_u32_e32 v8, vcc, s12, v8
	v_addc_co_u32_e32 v9, vcc, v35, v9, vcc
	global_load_dwordx2 v[8:9], v[8:9], off offset:1768
	v_mul_lo_u32 v3, s5, v6
	v_mul_lo_u32 v36, s4, v7
	v_mad_u64_u32 v[6:7], s[0:1], s4, v6, 0
	s_movk_i32 s1, 0x3aee
	s_mov_b32 s2, 0xbaee
	v_add3_u32 v7, v7, v36, v3
	s_mov_b32 s0, 0x20120121
	ds_read_u16 v12, v12 offset:182
	ds_read_u16 v50, v2 offset:546
	ds_read_u16 v11, v11
	s_waitcnt vmcnt(4) lgkmcnt(7)
	v_mul_f16_sdwa v3, v42, v29 dst_sel:DWORD dst_unused:UNUSED_PAD src0_sel:DWORD src1_sel:WORD_1
	v_mul_f16_sdwa v36, v28, v29 dst_sel:DWORD dst_unused:UNUSED_PAD src0_sel:DWORD src1_sel:WORD_1
	;; [unrolled: 1-line block ×3, first 2 shown]
	v_fma_f16 v3, v28, v29, -v3
	v_fma_f16 v28, v29, v42, v36
	v_fma_f16 v29, v30, v37, v46
	ds_read_u16 v46, v2 offset:728
	v_mul_f16_sdwa v35, v37, v30 dst_sel:DWORD dst_unused:UNUSED_PAD src0_sel:DWORD src1_sel:WORD_1
	v_fma_f16 v27, v27, v30, -v35
	s_waitcnt vmcnt(3) lgkmcnt(7)
	v_mul_f16_sdwa v30, v43, v31 dst_sel:DWORD dst_unused:UNUSED_PAD src0_sel:DWORD src1_sel:WORD_1
	v_mul_f16_sdwa v36, v25, v31 dst_sel:DWORD dst_unused:UNUSED_PAD src0_sel:DWORD src1_sel:WORD_1
	;; [unrolled: 1-line block ×4, first 2 shown]
	v_add_f16_e32 v47, v28, v29
	v_sub_f16_e32 v49, v28, v29
	s_waitcnt lgkmcnt(0)
	v_add_f16_e32 v28, v28, v46
	v_fma_f16 v25, v25, v31, -v30
	v_fma_f16 v30, v31, v43, v36
	v_fma_f16 v31, v32, v38, v37
	v_sub_f16_e32 v42, v3, v27
	v_add_f16_e32 v48, v3, v27
	v_add_f16_e32 v3, v24, v3
	v_fma_f16 v26, v26, v32, -v35
	v_add_f16_e32 v28, v29, v28
	v_add_f16_e32 v29, v30, v31
	;; [unrolled: 1-line block ×3, first 2 shown]
	v_sub_f16_e32 v3, v25, v26
	v_fma_f16 v29, v29, -0.5, v50
	v_add_f16_e32 v38, v25, v26
	ds_read_u16 v2, v2 offset:364
	v_fma_f16 v37, v3, s1, v29
	v_fma_f16 v38, v38, -0.5, v23
	v_add_f16_e32 v23, v23, v25
	v_fma_f16 v25, v3, s2, v29
	s_waitcnt vmcnt(2)
	v_mul_f16_sdwa v3, v13, v33 dst_sel:DWORD dst_unused:UNUSED_PAD src0_sel:DWORD src1_sel:WORD_1
	v_fma_f16 v3, v21, v33, -v3
	v_mul_f16_sdwa v21, v21, v33 dst_sel:DWORD dst_unused:UNUSED_PAD src0_sel:DWORD src1_sel:WORD_1
	v_fma_f16 v13, v33, v13, v21
	v_mul_f16_sdwa v21, v22, v34 dst_sel:DWORD dst_unused:UNUSED_PAD src0_sel:DWORD src1_sel:WORD_1
	v_mul_f16_sdwa v29, v39, v34 dst_sel:DWORD dst_unused:UNUSED_PAD src0_sel:DWORD src1_sel:WORD_1
	v_fma_f16 v21, v34, v39, v21
	v_fma_f16 v32, v47, -0.5, v46
	v_fma_f16 v29, v22, v34, -v29
	v_add_f16_e32 v22, v13, v21
	v_fma_f16 v35, v42, s1, v32
	v_fma_f16 v32, v42, s2, v32
	v_sub_f16_e32 v42, v30, v31
	s_waitcnt lgkmcnt(0)
	v_fma_f16 v22, v22, -0.5, v2
	v_add_f16_e32 v2, v13, v2
	v_fma_f16 v43, v42, s2, v38
	v_add_f16_e32 v23, v23, v26
	v_fma_f16 v26, v42, s1, v38
	v_add_f16_e32 v34, v3, v29
	v_sub_f16_e32 v38, v13, v21
	v_add_f16_e32 v13, v21, v2
	v_add_f16_e32 v2, v20, v3
	v_fma_f16 v34, v34, -0.5, v20
	v_add_f16_e32 v20, v2, v29
	s_waitcnt vmcnt(1)
	v_mul_f16_sdwa v2, v44, v0 dst_sel:DWORD dst_unused:UNUSED_PAD src0_sel:DWORD src1_sel:WORD_1
	v_add_f16_e32 v30, v30, v50
	v_fma_f16 v2, v18, v0, -v2
	v_mul_f16_sdwa v18, v18, v0 dst_sel:DWORD dst_unused:UNUSED_PAD src0_sel:DWORD src1_sel:WORD_1
	v_add_f16_e32 v30, v31, v30
	v_sub_f16_e32 v31, v3, v29
	v_mul_f16_sdwa v3, v40, v1 dst_sel:DWORD dst_unused:UNUSED_PAD src0_sel:DWORD src1_sel:WORD_1
	v_fma_f16 v0, v0, v44, v18
	v_mul_f16_sdwa v18, v19, v1 dst_sel:DWORD dst_unused:UNUSED_PAD src0_sel:DWORD src1_sel:WORD_1
	v_fma_f16 v3, v19, v1, -v3
	v_fma_f16 v1, v1, v40, v18
	v_fma_f16 v33, v31, s1, v22
	;; [unrolled: 1-line block ×5, first 2 shown]
	v_add_f16_e32 v18, v0, v1
	v_sub_f16_e32 v34, v0, v1
	v_add_f16_e32 v0, v0, v12
	v_fma_f16 v18, v18, -0.5, v12
	v_add_f16_e32 v29, v2, v3
	v_add_f16_e32 v12, v1, v0
	;; [unrolled: 1-line block ×3, first 2 shown]
	v_fma_f16 v29, v29, -0.5, v16
	v_add_f16_e32 v16, v0, v3
	s_waitcnt vmcnt(0)
	v_mul_f16_sdwa v0, v45, v8 dst_sel:DWORD dst_unused:UNUSED_PAD src0_sel:DWORD src1_sel:WORD_1
	v_sub_f16_e32 v21, v2, v3
	v_fma_f16 v3, v15, v8, -v0
	v_mul_f16_sdwa v0, v41, v9 dst_sel:DWORD dst_unused:UNUSED_PAD src0_sel:DWORD src1_sel:WORD_1
	v_fma_f16 v19, v21, s1, v18
	v_fma_f16 v38, v34, s2, v29
	;; [unrolled: 1-line block ×4, first 2 shown]
	v_fma_f16 v29, v17, v9, -v0
	v_mul_f16_sdwa v0, v15, v8 dst_sel:DWORD dst_unused:UNUSED_PAD src0_sel:DWORD src1_sel:WORD_1
	v_fma_f16 v8, v8, v45, v0
	v_mul_f16_sdwa v0, v17, v9 dst_sel:DWORD dst_unused:UNUSED_PAD src0_sel:DWORD src1_sel:WORD_1
	v_mul_hi_u32 v1, v10, s0
	v_fma_f16 v9, v9, v41, v0
	v_add_f16_e32 v0, v8, v9
	v_fma_f16 v15, v0, -0.5, v11
	v_add_f16_e32 v0, v3, v29
	v_fma_f16 v34, v0, -0.5, v14
	v_sub_u32_e32 v0, v10, v1
	v_lshrrev_b32_e32 v0, 1, v0
	v_add_u32_e32 v0, v0, v1
	v_lshrrev_b32_e32 v0, 8, v0
	v_mul_u32_u24_e32 v0, 0x1c7, v0
	v_sub_u32_e32 v42, v10, v0
	v_mad_u64_u32 v[0:1], s[4:5], s20, v42, 0
	v_fma_f16 v24, v48, -0.5, v24
	v_sub_f16_e32 v2, v3, v29
	v_sub_f16_e32 v40, v8, v9
	v_fma_f16 v36, v49, s2, v24
	v_fma_f16 v17, v2, s1, v15
	;; [unrolled: 1-line block ×4, first 2 shown]
	v_mad_u64_u32 v[1:2], s[2:3], s21, v42, v[1:2]
	v_add_f16_e32 v8, v8, v11
	v_add_f16_e32 v2, v14, v3
	;; [unrolled: 1-line block ×4, first 2 shown]
	v_lshlrev_b64 v[2:3], 2, v[6:7]
	v_mov_b32_e32 v6, s11
	v_add_co_u32_e32 v7, vcc, s10, v2
	v_add_u32_e32 v11, 0x1c7, v42
	v_addc_co_u32_e32 v6, vcc, v6, v3, vcc
	v_lshlrev_b64 v[2:3], 2, v[4:5]
	v_mad_u64_u32 v[4:5], s[2:3], s20, v11, 0
	v_add_co_u32_e32 v7, vcc, v7, v2
	v_mov_b32_e32 v2, v5
	v_addc_co_u32_e32 v6, vcc, v6, v3, vcc
	v_mad_u64_u32 v[2:3], s[2:3], s21, v11, v[2:3]
	v_lshlrev_b64 v[0:1], 2, v[0:1]
	v_pack_b32_f16 v3, v9, v8
	v_add_co_u32_e32 v0, vcc, v7, v0
	v_addc_co_u32_e32 v1, vcc, v6, v1, vcc
	v_mov_b32_e32 v5, v2
	global_store_dword v[0:1], v3, off
	v_lshlrev_b64 v[0:1], 2, v[4:5]
	v_add_u32_e32 v4, 0x38e, v42
	v_mad_u64_u32 v[2:3], s[2:3], s20, v4, 0
	v_fma_f16 v34, v40, s1, v34
	v_add_co_u32_e32 v0, vcc, v7, v0
	v_mad_u64_u32 v[3:4], s[2:3], s21, v4, v[3:4]
	v_add_u32_e32 v4, 0x5b, v10
	v_mul_hi_u32 v8, v4, s0
	v_addc_co_u32_e32 v1, vcc, v6, v1, vcc
	v_pack_b32_f16 v5, v34, v15
	global_store_dword v[0:1], v5, off
	v_lshlrev_b64 v[0:1], 2, v[2:3]
	v_sub_u32_e32 v2, v4, v8
	v_lshrrev_b32_e32 v2, 1, v2
	v_add_u32_e32 v2, v2, v8
	v_lshrrev_b32_e32 v2, 8, v2
	v_mul_u32_u24_e32 v3, 0x1c7, v2
	v_sub_u32_e32 v3, v4, v3
	s_movk_i32 s4, 0x555
	v_mad_u32_u24 v8, v2, s4, v3
	v_mad_u64_u32 v[2:3], s[2:3], s20, v8, 0
	v_add_u32_e32 v11, 0x1c7, v8
	v_add_co_u32_e32 v0, vcc, v7, v0
	v_mad_u64_u32 v[3:4], s[2:3], s21, v8, v[3:4]
	v_mad_u64_u32 v[4:5], s[2:3], s20, v11, 0
	v_addc_co_u32_e32 v1, vcc, v6, v1, vcc
	v_pack_b32_f16 v9, v41, v17
	global_store_dword v[0:1], v9, off
	v_lshlrev_b64 v[0:1], 2, v[2:3]
	v_mov_b32_e32 v2, v5
	v_mad_u64_u32 v[2:3], s[2:3], s21, v11, v[2:3]
	v_add_co_u32_e32 v0, vcc, v7, v0
	v_addc_co_u32_e32 v1, vcc, v6, v1, vcc
	v_pack_b32_f16 v3, v16, v12
	v_mov_b32_e32 v5, v2
	global_store_dword v[0:1], v3, off
	v_lshlrev_b64 v[0:1], 2, v[4:5]
	v_add_u32_e32 v4, 0x38e, v8
	v_mad_u64_u32 v[2:3], s[2:3], s20, v4, 0
	v_add_co_u32_e32 v0, vcc, v7, v0
	v_mad_u64_u32 v[3:4], s[2:3], s21, v4, v[3:4]
	v_add_u32_e32 v4, 0xb6, v10
	v_mul_hi_u32 v8, v4, s0
	v_addc_co_u32_e32 v1, vcc, v6, v1, vcc
	v_pack_b32_f16 v5, v21, v18
	global_store_dword v[0:1], v5, off
	v_lshlrev_b64 v[0:1], 2, v[2:3]
	v_sub_u32_e32 v2, v4, v8
	v_lshrrev_b32_e32 v2, 1, v2
	v_add_u32_e32 v2, v2, v8
	v_lshrrev_b32_e32 v2, 8, v2
	v_mul_u32_u24_e32 v3, 0x1c7, v2
	v_sub_u32_e32 v3, v4, v3
	v_mad_u32_u24 v8, v2, s4, v3
	v_mad_u64_u32 v[2:3], s[2:3], s20, v8, 0
	v_add_u32_e32 v11, 0x1c7, v8
	v_add_co_u32_e32 v0, vcc, v7, v0
	v_mad_u64_u32 v[3:4], s[2:3], s21, v8, v[3:4]
	v_mad_u64_u32 v[4:5], s[2:3], s20, v11, 0
	v_addc_co_u32_e32 v1, vcc, v6, v1, vcc
	v_pack_b32_f16 v9, v38, v19
	global_store_dword v[0:1], v9, off
	v_lshlrev_b64 v[0:1], 2, v[2:3]
	v_mov_b32_e32 v2, v5
	v_mad_u64_u32 v[2:3], s[2:3], s21, v11, v[2:3]
	v_add_co_u32_e32 v0, vcc, v7, v0
	v_addc_co_u32_e32 v1, vcc, v6, v1, vcc
	v_pack_b32_f16 v3, v20, v13
	v_mov_b32_e32 v5, v2
	global_store_dword v[0:1], v3, off
	v_lshlrev_b64 v[0:1], 2, v[4:5]
	v_add_u32_e32 v4, 0x38e, v8
	v_mad_u64_u32 v[2:3], s[2:3], s20, v4, 0
	v_add_co_u32_e32 v0, vcc, v7, v0
	v_mad_u64_u32 v[3:4], s[2:3], s21, v4, v[3:4]
	v_add_u32_e32 v4, 0x111, v10
	v_mul_hi_u32 v8, v4, s0
	v_addc_co_u32_e32 v1, vcc, v6, v1, vcc
	v_pack_b32_f16 v5, v31, v22
	global_store_dword v[0:1], v5, off
	v_lshlrev_b64 v[0:1], 2, v[2:3]
	v_sub_u32_e32 v2, v4, v8
	v_lshrrev_b32_e32 v2, 1, v2
	v_add_u32_e32 v2, v2, v8
	v_lshrrev_b32_e32 v2, 8, v2
	v_mul_u32_u24_e32 v3, 0x1c7, v2
	v_sub_u32_e32 v3, v4, v3
	v_mad_u32_u24 v8, v2, s4, v3
	v_mad_u64_u32 v[2:3], s[2:3], s20, v8, 0
	v_add_u32_e32 v11, 0x1c7, v8
	v_add_co_u32_e32 v0, vcc, v7, v0
	v_mad_u64_u32 v[3:4], s[2:3], s21, v8, v[3:4]
	v_mad_u64_u32 v[4:5], s[2:3], s20, v11, 0
	v_addc_co_u32_e32 v1, vcc, v6, v1, vcc
	v_pack_b32_f16 v9, v39, v33
	global_store_dword v[0:1], v9, off
	v_lshlrev_b64 v[0:1], 2, v[2:3]
	v_mov_b32_e32 v2, v5
	v_mad_u64_u32 v[2:3], s[2:3], s21, v11, v[2:3]
	v_add_co_u32_e32 v0, vcc, v7, v0
	v_addc_co_u32_e32 v1, vcc, v6, v1, vcc
	v_pack_b32_f16 v3, v23, v30
	v_mov_b32_e32 v5, v2
	global_store_dword v[0:1], v3, off
	v_lshlrev_b64 v[0:1], 2, v[4:5]
	v_add_u32_e32 v4, 0x38e, v8
	v_mad_u64_u32 v[2:3], s[2:3], s20, v4, 0
	v_add_u32_e32 v5, 0x16c, v10
	v_mul_hi_u32 v9, v5, s0
	v_fma_f16 v24, v49, s1, v24
	v_mad_u64_u32 v[3:4], s[0:1], s21, v4, v[3:4]
	v_sub_u32_e32 v4, v5, v9
	v_lshrrev_b32_e32 v4, 1, v4
	v_add_u32_e32 v4, v4, v9
	v_lshrrev_b32_e32 v4, 8, v4
	v_mul_u32_u24_e32 v9, 0x1c7, v4
	v_sub_u32_e32 v5, v5, v9
	v_mad_u32_u24 v9, v4, s4, v5
	v_mad_u64_u32 v[4:5], s[0:1], s20, v9, 0
	v_add_co_u32_e32 v0, vcc, v7, v0
	v_addc_co_u32_e32 v1, vcc, v6, v1, vcc
	v_pack_b32_f16 v8, v26, v25
	global_store_dword v[0:1], v8, off
	v_lshlrev_b64 v[0:1], 2, v[2:3]
	v_mov_b32_e32 v2, v5
	v_mad_u64_u32 v[2:3], s[0:1], s21, v9, v[2:3]
	v_add_co_u32_e32 v0, vcc, v7, v0
	v_addc_co_u32_e32 v1, vcc, v6, v1, vcc
	v_pack_b32_f16 v3, v43, v37
	v_mov_b32_e32 v5, v2
	global_store_dword v[0:1], v3, off
	v_lshlrev_b64 v[0:1], 2, v[4:5]
	v_add_u32_e32 v4, 0x1c7, v9
	v_mad_u64_u32 v[2:3], s[0:1], s20, v4, 0
	v_add_u32_e32 v9, 0x38e, v9
	v_add_co_u32_e32 v0, vcc, v7, v0
	v_mad_u64_u32 v[3:4], s[0:1], s21, v4, v[3:4]
	v_mad_u64_u32 v[4:5], s[0:1], s20, v9, 0
	v_addc_co_u32_e32 v1, vcc, v6, v1, vcc
	v_pack_b32_f16 v8, v27, v28
	global_store_dword v[0:1], v8, off
	v_lshlrev_b64 v[0:1], 2, v[2:3]
	v_mov_b32_e32 v2, v5
	v_mad_u64_u32 v[2:3], s[0:1], s21, v9, v[2:3]
	v_add_co_u32_e32 v0, vcc, v7, v0
	v_addc_co_u32_e32 v1, vcc, v6, v1, vcc
	v_pack_b32_f16 v3, v24, v32
	v_mov_b32_e32 v5, v2
	global_store_dword v[0:1], v3, off
	v_lshlrev_b64 v[0:1], 2, v[4:5]
	v_pack_b32_f16 v2, v36, v35
	v_add_co_u32_e32 v0, vcc, v7, v0
	v_addc_co_u32_e32 v1, vcc, v6, v1, vcc
	global_store_dword v[0:1], v2, off
.LBB0_29:
	s_endpgm
	.section	.rodata,"a",@progbits
	.p2align	6, 0x0
	.amdhsa_kernel fft_rtc_fwd_len1365_factors_13_7_5_3_wgs_182_tpt_91_halfLds_half_op_CI_CI_sbrr_dirReg
		.amdhsa_group_segment_fixed_size 0
		.amdhsa_private_segment_fixed_size 0
		.amdhsa_kernarg_size 104
		.amdhsa_user_sgpr_count 6
		.amdhsa_user_sgpr_private_segment_buffer 1
		.amdhsa_user_sgpr_dispatch_ptr 0
		.amdhsa_user_sgpr_queue_ptr 0
		.amdhsa_user_sgpr_kernarg_segment_ptr 1
		.amdhsa_user_sgpr_dispatch_id 0
		.amdhsa_user_sgpr_flat_scratch_init 0
		.amdhsa_user_sgpr_private_segment_size 0
		.amdhsa_uses_dynamic_stack 0
		.amdhsa_system_sgpr_private_segment_wavefront_offset 0
		.amdhsa_system_sgpr_workgroup_id_x 1
		.amdhsa_system_sgpr_workgroup_id_y 0
		.amdhsa_system_sgpr_workgroup_id_z 0
		.amdhsa_system_sgpr_workgroup_info 0
		.amdhsa_system_vgpr_workitem_id 0
		.amdhsa_next_free_vgpr 104
		.amdhsa_next_free_sgpr 49
		.amdhsa_reserve_vcc 1
		.amdhsa_reserve_flat_scratch 0
		.amdhsa_float_round_mode_32 0
		.amdhsa_float_round_mode_16_64 0
		.amdhsa_float_denorm_mode_32 3
		.amdhsa_float_denorm_mode_16_64 3
		.amdhsa_dx10_clamp 1
		.amdhsa_ieee_mode 1
		.amdhsa_fp16_overflow 0
		.amdhsa_exception_fp_ieee_invalid_op 0
		.amdhsa_exception_fp_denorm_src 0
		.amdhsa_exception_fp_ieee_div_zero 0
		.amdhsa_exception_fp_ieee_overflow 0
		.amdhsa_exception_fp_ieee_underflow 0
		.amdhsa_exception_fp_ieee_inexact 0
		.amdhsa_exception_int_div_zero 0
	.end_amdhsa_kernel
	.text
.Lfunc_end0:
	.size	fft_rtc_fwd_len1365_factors_13_7_5_3_wgs_182_tpt_91_halfLds_half_op_CI_CI_sbrr_dirReg, .Lfunc_end0-fft_rtc_fwd_len1365_factors_13_7_5_3_wgs_182_tpt_91_halfLds_half_op_CI_CI_sbrr_dirReg
                                        ; -- End function
	.section	.AMDGPU.csdata,"",@progbits
; Kernel info:
; codeLenInByte = 15468
; NumSgprs: 53
; NumVgprs: 104
; ScratchSize: 0
; MemoryBound: 0
; FloatMode: 240
; IeeeMode: 1
; LDSByteSize: 0 bytes/workgroup (compile time only)
; SGPRBlocks: 6
; VGPRBlocks: 25
; NumSGPRsForWavesPerEU: 53
; NumVGPRsForWavesPerEU: 104
; Occupancy: 2
; WaveLimiterHint : 1
; COMPUTE_PGM_RSRC2:SCRATCH_EN: 0
; COMPUTE_PGM_RSRC2:USER_SGPR: 6
; COMPUTE_PGM_RSRC2:TRAP_HANDLER: 0
; COMPUTE_PGM_RSRC2:TGID_X_EN: 1
; COMPUTE_PGM_RSRC2:TGID_Y_EN: 0
; COMPUTE_PGM_RSRC2:TGID_Z_EN: 0
; COMPUTE_PGM_RSRC2:TIDIG_COMP_CNT: 0
	.type	__hip_cuid_4b7e3c4c2f2ac65c,@object ; @__hip_cuid_4b7e3c4c2f2ac65c
	.section	.bss,"aw",@nobits
	.globl	__hip_cuid_4b7e3c4c2f2ac65c
__hip_cuid_4b7e3c4c2f2ac65c:
	.byte	0                               ; 0x0
	.size	__hip_cuid_4b7e3c4c2f2ac65c, 1

	.ident	"AMD clang version 19.0.0git (https://github.com/RadeonOpenCompute/llvm-project roc-6.4.0 25133 c7fe45cf4b819c5991fe208aaa96edf142730f1d)"
	.section	".note.GNU-stack","",@progbits
	.addrsig
	.addrsig_sym __hip_cuid_4b7e3c4c2f2ac65c
	.amdgpu_metadata
---
amdhsa.kernels:
  - .args:
      - .actual_access:  read_only
        .address_space:  global
        .offset:         0
        .size:           8
        .value_kind:     global_buffer
      - .offset:         8
        .size:           8
        .value_kind:     by_value
      - .actual_access:  read_only
        .address_space:  global
        .offset:         16
        .size:           8
        .value_kind:     global_buffer
      - .actual_access:  read_only
        .address_space:  global
        .offset:         24
        .size:           8
        .value_kind:     global_buffer
      - .actual_access:  read_only
        .address_space:  global
        .offset:         32
        .size:           8
        .value_kind:     global_buffer
      - .offset:         40
        .size:           8
        .value_kind:     by_value
      - .actual_access:  read_only
        .address_space:  global
        .offset:         48
        .size:           8
        .value_kind:     global_buffer
      - .actual_access:  read_only
        .address_space:  global
        .offset:         56
        .size:           8
        .value_kind:     global_buffer
      - .offset:         64
        .size:           4
        .value_kind:     by_value
      - .actual_access:  read_only
        .address_space:  global
        .offset:         72
        .size:           8
        .value_kind:     global_buffer
      - .actual_access:  read_only
        .address_space:  global
        .offset:         80
        .size:           8
        .value_kind:     global_buffer
      - .actual_access:  read_only
        .address_space:  global
        .offset:         88
        .size:           8
        .value_kind:     global_buffer
      - .actual_access:  write_only
        .address_space:  global
        .offset:         96
        .size:           8
        .value_kind:     global_buffer
    .group_segment_fixed_size: 0
    .kernarg_segment_align: 8
    .kernarg_segment_size: 104
    .language:       OpenCL C
    .language_version:
      - 2
      - 0
    .max_flat_workgroup_size: 182
    .name:           fft_rtc_fwd_len1365_factors_13_7_5_3_wgs_182_tpt_91_halfLds_half_op_CI_CI_sbrr_dirReg
    .private_segment_fixed_size: 0
    .sgpr_count:     53
    .sgpr_spill_count: 0
    .symbol:         fft_rtc_fwd_len1365_factors_13_7_5_3_wgs_182_tpt_91_halfLds_half_op_CI_CI_sbrr_dirReg.kd
    .uniform_work_group_size: 1
    .uses_dynamic_stack: false
    .vgpr_count:     104
    .vgpr_spill_count: 0
    .wavefront_size: 64
amdhsa.target:   amdgcn-amd-amdhsa--gfx906
amdhsa.version:
  - 1
  - 2
...

	.end_amdgpu_metadata
